;; amdgpu-corpus repo=ROCm/rocFFT kind=compiled arch=gfx1030 opt=O3
	.text
	.amdgcn_target "amdgcn-amd-amdhsa--gfx1030"
	.amdhsa_code_object_version 6
	.protected	fft_rtc_back_len1650_factors_11_2_3_5_5_wgs_110_tpt_110_halfLds_sp_ip_CI_unitstride_sbrr_C2R_dirReg ; -- Begin function fft_rtc_back_len1650_factors_11_2_3_5_5_wgs_110_tpt_110_halfLds_sp_ip_CI_unitstride_sbrr_C2R_dirReg
	.globl	fft_rtc_back_len1650_factors_11_2_3_5_5_wgs_110_tpt_110_halfLds_sp_ip_CI_unitstride_sbrr_C2R_dirReg
	.p2align	8
	.type	fft_rtc_back_len1650_factors_11_2_3_5_5_wgs_110_tpt_110_halfLds_sp_ip_CI_unitstride_sbrr_C2R_dirReg,@function
fft_rtc_back_len1650_factors_11_2_3_5_5_wgs_110_tpt_110_halfLds_sp_ip_CI_unitstride_sbrr_C2R_dirReg: ; @fft_rtc_back_len1650_factors_11_2_3_5_5_wgs_110_tpt_110_halfLds_sp_ip_CI_unitstride_sbrr_C2R_dirReg
; %bb.0:
	s_clause 0x2
	s_load_dwordx4 s[8:11], s[4:5], 0x0
	s_load_dwordx2 s[2:3], s[4:5], 0x50
	s_load_dwordx2 s[12:13], s[4:5], 0x18
	v_mul_u32_u24_e32 v1, 0x254, v0
	v_mov_b32_e32 v3, 0
	v_add_nc_u32_sdwa v5, s6, v1 dst_sel:DWORD dst_unused:UNUSED_PAD src0_sel:DWORD src1_sel:WORD_1
	v_mov_b32_e32 v1, 0
	v_mov_b32_e32 v6, v3
	v_mov_b32_e32 v2, 0
	s_waitcnt lgkmcnt(0)
	v_cmp_lt_u64_e64 s0, s[10:11], 2
	s_and_b32 vcc_lo, exec_lo, s0
	s_cbranch_vccnz .LBB0_8
; %bb.1:
	s_load_dwordx2 s[0:1], s[4:5], 0x10
	v_mov_b32_e32 v1, 0
	s_add_u32 s6, s12, 8
	v_mov_b32_e32 v2, 0
	s_addc_u32 s7, s13, 0
	s_mov_b64 s[16:17], 1
	s_waitcnt lgkmcnt(0)
	s_add_u32 s14, s0, 8
	s_addc_u32 s15, s1, 0
.LBB0_2:                                ; =>This Inner Loop Header: Depth=1
	s_load_dwordx2 s[18:19], s[14:15], 0x0
                                        ; implicit-def: $vgpr7_vgpr8
	s_mov_b32 s0, exec_lo
	s_waitcnt lgkmcnt(0)
	v_or_b32_e32 v4, s19, v6
	v_cmpx_ne_u64_e32 0, v[3:4]
	s_xor_b32 s1, exec_lo, s0
	s_cbranch_execz .LBB0_4
; %bb.3:                                ;   in Loop: Header=BB0_2 Depth=1
	v_cvt_f32_u32_e32 v4, s18
	v_cvt_f32_u32_e32 v7, s19
	s_sub_u32 s0, 0, s18
	s_subb_u32 s20, 0, s19
	v_fmac_f32_e32 v4, 0x4f800000, v7
	v_rcp_f32_e32 v4, v4
	v_mul_f32_e32 v4, 0x5f7ffffc, v4
	v_mul_f32_e32 v7, 0x2f800000, v4
	v_trunc_f32_e32 v7, v7
	v_fmac_f32_e32 v4, 0xcf800000, v7
	v_cvt_u32_f32_e32 v7, v7
	v_cvt_u32_f32_e32 v4, v4
	v_mul_lo_u32 v8, s0, v7
	v_mul_hi_u32 v9, s0, v4
	v_mul_lo_u32 v10, s20, v4
	v_add_nc_u32_e32 v8, v9, v8
	v_mul_lo_u32 v9, s0, v4
	v_add_nc_u32_e32 v8, v8, v10
	v_mul_hi_u32 v10, v4, v9
	v_mul_lo_u32 v11, v4, v8
	v_mul_hi_u32 v12, v4, v8
	v_mul_hi_u32 v13, v7, v9
	v_mul_lo_u32 v9, v7, v9
	v_mul_hi_u32 v14, v7, v8
	v_mul_lo_u32 v8, v7, v8
	v_add_co_u32 v10, vcc_lo, v10, v11
	v_add_co_ci_u32_e32 v11, vcc_lo, 0, v12, vcc_lo
	v_add_co_u32 v9, vcc_lo, v10, v9
	v_add_co_ci_u32_e32 v9, vcc_lo, v11, v13, vcc_lo
	v_add_co_ci_u32_e32 v10, vcc_lo, 0, v14, vcc_lo
	v_add_co_u32 v8, vcc_lo, v9, v8
	v_add_co_ci_u32_e32 v9, vcc_lo, 0, v10, vcc_lo
	v_add_co_u32 v4, vcc_lo, v4, v8
	v_add_co_ci_u32_e32 v7, vcc_lo, v7, v9, vcc_lo
	v_mul_hi_u32 v8, s0, v4
	v_mul_lo_u32 v10, s20, v4
	v_mul_lo_u32 v9, s0, v7
	v_add_nc_u32_e32 v8, v8, v9
	v_mul_lo_u32 v9, s0, v4
	v_add_nc_u32_e32 v8, v8, v10
	v_mul_hi_u32 v10, v4, v9
	v_mul_lo_u32 v11, v4, v8
	v_mul_hi_u32 v12, v4, v8
	v_mul_hi_u32 v13, v7, v9
	v_mul_lo_u32 v9, v7, v9
	v_mul_hi_u32 v14, v7, v8
	v_mul_lo_u32 v8, v7, v8
	v_add_co_u32 v10, vcc_lo, v10, v11
	v_add_co_ci_u32_e32 v11, vcc_lo, 0, v12, vcc_lo
	v_add_co_u32 v9, vcc_lo, v10, v9
	v_add_co_ci_u32_e32 v9, vcc_lo, v11, v13, vcc_lo
	v_add_co_ci_u32_e32 v10, vcc_lo, 0, v14, vcc_lo
	v_add_co_u32 v8, vcc_lo, v9, v8
	v_add_co_ci_u32_e32 v9, vcc_lo, 0, v10, vcc_lo
	v_add_co_u32 v4, vcc_lo, v4, v8
	v_add_co_ci_u32_e32 v11, vcc_lo, v7, v9, vcc_lo
	v_mul_hi_u32 v13, v5, v4
	v_mad_u64_u32 v[9:10], null, v6, v4, 0
	v_mad_u64_u32 v[7:8], null, v5, v11, 0
	;; [unrolled: 1-line block ×3, first 2 shown]
	v_add_co_u32 v4, vcc_lo, v13, v7
	v_add_co_ci_u32_e32 v7, vcc_lo, 0, v8, vcc_lo
	v_add_co_u32 v4, vcc_lo, v4, v9
	v_add_co_ci_u32_e32 v4, vcc_lo, v7, v10, vcc_lo
	v_add_co_ci_u32_e32 v7, vcc_lo, 0, v12, vcc_lo
	v_add_co_u32 v4, vcc_lo, v4, v11
	v_add_co_ci_u32_e32 v9, vcc_lo, 0, v7, vcc_lo
	v_mul_lo_u32 v10, s19, v4
	v_mad_u64_u32 v[7:8], null, s18, v4, 0
	v_mul_lo_u32 v11, s18, v9
	v_sub_co_u32 v7, vcc_lo, v5, v7
	v_add3_u32 v8, v8, v11, v10
	v_sub_nc_u32_e32 v10, v6, v8
	v_subrev_co_ci_u32_e64 v10, s0, s19, v10, vcc_lo
	v_add_co_u32 v11, s0, v4, 2
	v_add_co_ci_u32_e64 v12, s0, 0, v9, s0
	v_sub_co_u32 v13, s0, v7, s18
	v_sub_co_ci_u32_e32 v8, vcc_lo, v6, v8, vcc_lo
	v_subrev_co_ci_u32_e64 v10, s0, 0, v10, s0
	v_cmp_le_u32_e32 vcc_lo, s18, v13
	v_cmp_eq_u32_e64 s0, s19, v8
	v_cndmask_b32_e64 v13, 0, -1, vcc_lo
	v_cmp_le_u32_e32 vcc_lo, s19, v10
	v_cndmask_b32_e64 v14, 0, -1, vcc_lo
	v_cmp_le_u32_e32 vcc_lo, s18, v7
	;; [unrolled: 2-line block ×3, first 2 shown]
	v_cndmask_b32_e64 v15, 0, -1, vcc_lo
	v_cmp_eq_u32_e32 vcc_lo, s19, v10
	v_cndmask_b32_e64 v7, v15, v7, s0
	v_cndmask_b32_e32 v10, v14, v13, vcc_lo
	v_add_co_u32 v13, vcc_lo, v4, 1
	v_add_co_ci_u32_e32 v14, vcc_lo, 0, v9, vcc_lo
	v_cmp_ne_u32_e32 vcc_lo, 0, v10
	v_cndmask_b32_e32 v8, v14, v12, vcc_lo
	v_cndmask_b32_e32 v10, v13, v11, vcc_lo
	v_cmp_ne_u32_e32 vcc_lo, 0, v7
	v_cndmask_b32_e32 v8, v9, v8, vcc_lo
	v_cndmask_b32_e32 v7, v4, v10, vcc_lo
.LBB0_4:                                ;   in Loop: Header=BB0_2 Depth=1
	s_andn2_saveexec_b32 s0, s1
	s_cbranch_execz .LBB0_6
; %bb.5:                                ;   in Loop: Header=BB0_2 Depth=1
	v_cvt_f32_u32_e32 v4, s18
	s_sub_i32 s1, 0, s18
	v_rcp_iflag_f32_e32 v4, v4
	v_mul_f32_e32 v4, 0x4f7ffffe, v4
	v_cvt_u32_f32_e32 v4, v4
	v_mul_lo_u32 v7, s1, v4
	v_mul_hi_u32 v7, v4, v7
	v_add_nc_u32_e32 v4, v4, v7
	v_mul_hi_u32 v4, v5, v4
	v_mul_lo_u32 v7, v4, s18
	v_add_nc_u32_e32 v8, 1, v4
	v_sub_nc_u32_e32 v7, v5, v7
	v_subrev_nc_u32_e32 v9, s18, v7
	v_cmp_le_u32_e32 vcc_lo, s18, v7
	v_cndmask_b32_e32 v7, v7, v9, vcc_lo
	v_cndmask_b32_e32 v4, v4, v8, vcc_lo
	v_cmp_le_u32_e32 vcc_lo, s18, v7
	v_add_nc_u32_e32 v8, 1, v4
	v_cndmask_b32_e32 v7, v4, v8, vcc_lo
	v_mov_b32_e32 v8, v3
.LBB0_6:                                ;   in Loop: Header=BB0_2 Depth=1
	s_or_b32 exec_lo, exec_lo, s0
	s_load_dwordx2 s[0:1], s[6:7], 0x0
	v_mul_lo_u32 v4, v8, s18
	v_mul_lo_u32 v11, v7, s19
	v_mad_u64_u32 v[9:10], null, v7, s18, 0
	s_add_u32 s16, s16, 1
	s_addc_u32 s17, s17, 0
	s_add_u32 s6, s6, 8
	s_addc_u32 s7, s7, 0
	;; [unrolled: 2-line block ×3, first 2 shown]
	v_add3_u32 v4, v10, v11, v4
	v_sub_co_u32 v5, vcc_lo, v5, v9
	v_sub_co_ci_u32_e32 v4, vcc_lo, v6, v4, vcc_lo
	s_waitcnt lgkmcnt(0)
	v_mul_lo_u32 v6, s1, v5
	v_mul_lo_u32 v4, s0, v4
	v_mad_u64_u32 v[1:2], null, s0, v5, v[1:2]
	v_cmp_ge_u64_e64 s0, s[16:17], s[10:11]
	s_and_b32 vcc_lo, exec_lo, s0
	v_add3_u32 v2, v6, v2, v4
	s_cbranch_vccnz .LBB0_9
; %bb.7:                                ;   in Loop: Header=BB0_2 Depth=1
	v_mov_b32_e32 v5, v7
	v_mov_b32_e32 v6, v8
	s_branch .LBB0_2
.LBB0_8:
	v_mov_b32_e32 v8, v6
	v_mov_b32_e32 v7, v5
.LBB0_9:
	s_lshl_b64 s[0:1], s[10:11], 3
	v_mul_hi_u32 v5, 0x253c826, v0
	s_add_u32 s0, s12, s0
	s_addc_u32 s1, s13, s1
	s_load_dwordx2 s[0:1], s[0:1], 0x0
	s_load_dwordx2 s[4:5], s[4:5], 0x20
	s_waitcnt lgkmcnt(0)
	v_mul_lo_u32 v3, s0, v8
	v_mul_lo_u32 v4, s1, v7
	v_mad_u64_u32 v[1:2], null, s0, v7, v[1:2]
	v_cmp_gt_u64_e32 vcc_lo, s[4:5], v[7:8]
	v_add3_u32 v2, v4, v2, v3
	v_mul_u32_u24_e32 v3, 0x6e, v5
	v_lshlrev_b64 v[46:47], 3, v[1:2]
	v_sub_nc_u32_e32 v44, v0, v3
	s_and_saveexec_b32 s1, vcc_lo
	s_cbranch_execz .LBB0_13
; %bb.10:
	v_mov_b32_e32 v45, 0
	v_add_co_u32 v0, s0, s2, v46
	v_add_co_ci_u32_e64 v1, s0, s3, v47, s0
	v_lshlrev_b64 v[2:3], 3, v[44:45]
	v_lshl_add_u32 v32, v44, 3, 0
	s_mov_b32 s4, exec_lo
	v_add_nc_u32_e32 v33, 0x400, v32
	v_add_co_u32 v2, s0, v0, v2
	v_add_co_ci_u32_e64 v3, s0, v1, v3, s0
	v_add_nc_u32_e32 v34, 0xc00, v32
	v_add_co_u32 v4, s0, 0x800, v2
	v_add_co_ci_u32_e64 v5, s0, 0, v3, s0
	v_add_co_u32 v6, s0, 0x1000, v2
	v_add_co_ci_u32_e64 v7, s0, 0, v3, s0
	;; [unrolled: 2-line block ×5, first 2 shown]
	s_clause 0x7
	global_load_dwordx2 v[10:11], v[2:3], off
	global_load_dwordx2 v[12:13], v[2:3], off offset:880
	global_load_dwordx2 v[14:15], v[2:3], off offset:1760
	;; [unrolled: 1-line block ×7, first 2 shown]
	v_add_co_u32 v2, s0, 0x3000, v2
	v_add_co_ci_u32_e64 v3, s0, 0, v3, s0
	s_clause 0x6
	global_load_dwordx2 v[26:27], v[8:9], off offset:896
	global_load_dwordx2 v[8:9], v[8:9], off offset:1776
	;; [unrolled: 1-line block ×7, first 2 shown]
	v_add_nc_u32_e32 v35, 0x1400, v32
	v_add_nc_u32_e32 v36, 0x1800, v32
	v_add_nc_u32_e32 v37, 0x2000, v32
	v_add_nc_u32_e32 v38, 0x2800, v32
	s_waitcnt vmcnt(13)
	ds_write2_b64 v32, v[10:11], v[12:13] offset1:110
	s_waitcnt vmcnt(11)
	ds_write2_b64 v33, v[14:15], v[16:17] offset0:92 offset1:202
	s_waitcnt vmcnt(9)
	ds_write2_b64 v34, v[4:5], v[18:19] offset0:56 offset1:166
	;; [unrolled: 2-line block ×6, first 2 shown]
	s_waitcnt vmcnt(0)
	ds_write_b64 v32, v[2:3] offset:12320
	v_cmpx_eq_u32_e32 0x6d, v44
	s_cbranch_execz .LBB0_12
; %bb.11:
	v_add_co_u32 v0, s0, 0x3000, v0
	v_add_co_ci_u32_e64 v1, s0, 0, v1, s0
	v_mov_b32_e32 v44, 0x6d
	global_load_dwordx2 v[0:1], v[0:1], off offset:912
	s_waitcnt vmcnt(0)
	ds_write_b64 v45, v[0:1] offset:13200
.LBB0_12:
	s_or_b32 exec_lo, exec_lo, s4
.LBB0_13:
	s_or_b32 exec_lo, exec_lo, s1
	v_lshlrev_b32_e32 v0, 3, v44
	s_waitcnt lgkmcnt(0)
	s_barrier
	buffer_gl0_inv
	s_add_u32 s1, s8, 0x3338
	v_add_nc_u32_e32 v48, 0, v0
	v_sub_nc_u32_e32 v4, 0, v0
	s_addc_u32 s4, s9, 0
	s_mov_b32 s5, exec_lo
                                        ; implicit-def: $vgpr0_vgpr1
	ds_read_b32 v5, v48
	ds_read_b32 v6, v4 offset:13200
	s_waitcnt lgkmcnt(0)
	v_add_f32_e32 v2, v6, v5
	v_sub_f32_e32 v3, v5, v6
	v_cmpx_ne_u32_e32 0, v44
	s_xor_b32 s5, exec_lo, s5
	s_cbranch_execz .LBB0_15
; %bb.14:
	v_mov_b32_e32 v45, 0
	v_add_f32_e32 v7, v6, v5
	v_sub_f32_e32 v8, v5, v6
	v_lshlrev_b64 v[0:1], 3, v[44:45]
	v_add_co_u32 v0, s0, s1, v0
	v_add_co_ci_u32_e64 v1, s0, s4, v1, s0
	global_load_dwordx2 v[0:1], v[0:1], off
	ds_read_b32 v2, v4 offset:13204
	ds_read_b32 v3, v48 offset:4
	s_waitcnt lgkmcnt(0)
	v_add_f32_e32 v9, v2, v3
	v_sub_f32_e32 v2, v3, v2
	s_waitcnt vmcnt(0)
	v_fma_f32 v5, -v8, v1, v7
	v_fma_f32 v6, v9, v1, -v2
	v_fma_f32 v10, v8, v1, v7
	v_fma_f32 v3, v9, v1, v2
	v_fmac_f32_e32 v5, v0, v9
	v_fmac_f32_e32 v6, v8, v0
	v_fma_f32 v2, -v0, v9, v10
	v_fmac_f32_e32 v3, v8, v0
	v_mov_b32_e32 v0, v44
	v_mov_b32_e32 v1, v45
	ds_write_b64 v4, v[5:6] offset:13200
.LBB0_15:
	s_andn2_saveexec_b32 s0, s5
	s_cbranch_execz .LBB0_17
; %bb.16:
	v_mov_b32_e32 v7, 0
	ds_read_b64 v[0:1], v7 offset:6600
	s_waitcnt lgkmcnt(0)
	v_add_f32_e32 v5, v0, v0
	v_mul_f32_e32 v6, -2.0, v1
	v_mov_b32_e32 v0, 0
	v_mov_b32_e32 v1, 0
	ds_write_b64 v7, v[5:6] offset:6600
.LBB0_17:
	s_or_b32 exec_lo, exec_lo, s0
	v_lshlrev_b64 v[0:1], 3, v[0:1]
	v_add_co_u32 v0, s0, s1, v0
	v_add_co_ci_u32_e64 v1, s0, s4, v1, s0
	s_clause 0x1
	global_load_dwordx2 v[5:6], v[0:1], off offset:880
	global_load_dwordx2 v[7:8], v[0:1], off offset:1760
	v_add_co_u32 v9, s0, 0x800, v0
	v_add_co_ci_u32_e64 v10, s0, 0, v1, s0
	s_clause 0x1
	global_load_dwordx2 v[11:12], v[9:10], off offset:592
	global_load_dwordx2 v[9:10], v[9:10], off offset:1472
	;; [unrolled: 5-line block ×3, first 2 shown]
	ds_write_b64 v48, v[2:3]
	ds_read_b64 v[2:3], v48 offset:880
	ds_read_b64 v[17:18], v4 offset:12320
	v_cmp_gt_u32_e64 s0, 55, v44
	s_waitcnt lgkmcnt(0)
	v_add_f32_e32 v19, v2, v17
	v_add_f32_e32 v20, v18, v3
	v_sub_f32_e32 v21, v2, v17
	v_sub_f32_e32 v2, v3, v18
	s_waitcnt vmcnt(5)
	v_fma_f32 v22, v21, v6, v19
	v_fma_f32 v3, v20, v6, v2
	v_fma_f32 v17, -v21, v6, v19
	v_fma_f32 v18, v20, v6, -v2
	v_fma_f32 v2, -v5, v20, v22
	v_fmac_f32_e32 v3, v21, v5
	v_fmac_f32_e32 v17, v5, v20
	v_fmac_f32_e32 v18, v21, v5
	ds_write_b64 v48, v[2:3] offset:880
	ds_write_b64 v4, v[17:18] offset:12320
	ds_read_b64 v[2:3], v48 offset:1760
	ds_read_b64 v[5:6], v4 offset:11440
	s_waitcnt lgkmcnt(0)
	v_add_f32_e32 v17, v2, v5
	v_add_f32_e32 v18, v6, v3
	v_sub_f32_e32 v19, v2, v5
	v_sub_f32_e32 v2, v3, v6
	s_waitcnt vmcnt(4)
	v_fma_f32 v20, v19, v8, v17
	v_fma_f32 v3, v18, v8, v2
	v_fma_f32 v5, -v19, v8, v17
	v_fma_f32 v6, v18, v8, -v2
	v_fma_f32 v2, -v7, v18, v20
	v_fmac_f32_e32 v3, v19, v7
	v_fmac_f32_e32 v5, v7, v18
	v_fmac_f32_e32 v6, v19, v7
	ds_write_b64 v48, v[2:3] offset:1760
	ds_write_b64 v4, v[5:6] offset:11440
	ds_read_b64 v[2:3], v48 offset:2640
	ds_read_b64 v[5:6], v4 offset:10560
	s_waitcnt lgkmcnt(0)
	v_add_f32_e32 v7, v2, v5
	v_add_f32_e32 v8, v6, v3
	v_sub_f32_e32 v17, v2, v5
	v_sub_f32_e32 v2, v3, v6
	s_waitcnt vmcnt(3)
	v_fma_f32 v18, v17, v12, v7
	v_fma_f32 v3, v8, v12, v2
	v_fma_f32 v5, -v17, v12, v7
	v_fma_f32 v6, v8, v12, -v2
	v_fma_f32 v2, -v11, v8, v18
	v_fmac_f32_e32 v3, v17, v11
	v_fmac_f32_e32 v5, v11, v8
	v_fmac_f32_e32 v6, v17, v11
	ds_write_b64 v48, v[2:3] offset:2640
	ds_write_b64 v4, v[5:6] offset:10560
	ds_read_b64 v[2:3], v48 offset:3520
	ds_read_b64 v[5:6], v4 offset:9680
	s_waitcnt lgkmcnt(0)
	v_add_f32_e32 v7, v2, v5
	v_add_f32_e32 v8, v6, v3
	v_sub_f32_e32 v11, v2, v5
	v_sub_f32_e32 v2, v3, v6
	s_waitcnt vmcnt(2)
	v_fma_f32 v12, v11, v10, v7
	v_fma_f32 v3, v8, v10, v2
	v_fma_f32 v5, -v11, v10, v7
	v_fma_f32 v6, v8, v10, -v2
	v_fma_f32 v2, -v9, v8, v12
	v_fmac_f32_e32 v3, v11, v9
	v_fmac_f32_e32 v5, v9, v8
	v_fmac_f32_e32 v6, v11, v9
	ds_write_b64 v48, v[2:3] offset:3520
	ds_write_b64 v4, v[5:6] offset:9680
	ds_read_b64 v[2:3], v48 offset:4400
	ds_read_b64 v[5:6], v4 offset:8800
	s_waitcnt lgkmcnt(0)
	v_add_f32_e32 v7, v2, v5
	v_add_f32_e32 v8, v6, v3
	v_sub_f32_e32 v9, v2, v5
	v_sub_f32_e32 v2, v3, v6
	s_waitcnt vmcnt(1)
	v_fma_f32 v10, v9, v16, v7
	v_fma_f32 v3, v8, v16, v2
	v_fma_f32 v5, -v9, v16, v7
	v_fma_f32 v6, v8, v16, -v2
	v_fma_f32 v2, -v15, v8, v10
	v_fmac_f32_e32 v3, v9, v15
	v_fmac_f32_e32 v5, v15, v8
	v_fmac_f32_e32 v6, v9, v15
	ds_write_b64 v48, v[2:3] offset:4400
	ds_write_b64 v4, v[5:6] offset:8800
	ds_read_b64 v[2:3], v48 offset:5280
	ds_read_b64 v[5:6], v4 offset:7920
	s_waitcnt lgkmcnt(0)
	v_add_f32_e32 v7, v2, v5
	v_add_f32_e32 v8, v6, v3
	v_sub_f32_e32 v9, v2, v5
	v_sub_f32_e32 v2, v3, v6
	s_waitcnt vmcnt(0)
	v_fma_f32 v10, v9, v14, v7
	v_fma_f32 v3, v8, v14, v2
	v_fma_f32 v5, -v9, v14, v7
	v_fma_f32 v6, v8, v14, -v2
	v_fma_f32 v2, -v13, v8, v10
	v_fmac_f32_e32 v3, v9, v13
	v_fmac_f32_e32 v5, v13, v8
	;; [unrolled: 1-line block ×3, first 2 shown]
	ds_write_b64 v48, v[2:3] offset:5280
	ds_write_b64 v4, v[5:6] offset:7920
	s_and_saveexec_b32 s4, s0
	s_cbranch_execz .LBB0_19
; %bb.18:
	v_add_co_u32 v0, s1, 0x1800, v0
	v_add_co_ci_u32_e64 v1, s1, 0, v1, s1
	global_load_dwordx2 v[0:1], v[0:1], off offset:16
	ds_read_b64 v[2:3], v48 offset:6160
	ds_read_b64 v[5:6], v4 offset:7040
	s_waitcnt lgkmcnt(0)
	v_add_f32_e32 v7, v2, v5
	v_add_f32_e32 v8, v6, v3
	v_sub_f32_e32 v9, v2, v5
	v_sub_f32_e32 v3, v3, v6
	s_waitcnt vmcnt(0)
	v_fma_f32 v10, v9, v1, v7
	v_fma_f32 v2, v8, v1, v3
	v_fma_f32 v5, -v9, v1, v7
	v_fma_f32 v6, v8, v1, -v3
	v_fma_f32 v1, -v0, v8, v10
	v_fmac_f32_e32 v2, v9, v0
	v_fmac_f32_e32 v5, v0, v8
	v_fmac_f32_e32 v6, v9, v0
	ds_write_b64 v48, v[1:2] offset:6160
	ds_write_b64 v4, v[5:6] offset:7040
.LBB0_19:
	s_or_b32 exec_lo, exec_lo, s4
	v_add_nc_u32_e32 v45, 0x400, v48
	v_add_nc_u32_e32 v0, 0x2c00, v48
	v_add_nc_u32_e32 v1, 0x800, v48
	v_add_nc_u32_e32 v49, 0x2800, v48
	v_add_nc_u32_e32 v50, 0xc00, v48
	s_waitcnt lgkmcnt(0)
	s_barrier
	buffer_gl0_inv
	s_barrier
	buffer_gl0_inv
	ds_read2_b64 v[24:27], v45 offset0:22 offset1:132
	ds_read2_b64 v[4:7], v0 offset0:92 offset1:202
	;; [unrolled: 1-line block ×3, first 2 shown]
	v_add_nc_u32_e32 v0, 0x2400, v48
	ds_read2_b64 v[8:11], v49 offset0:70 offset1:180
	ds_read2_b64 v[16:19], v50 offset0:66 offset1:176
	;; [unrolled: 1-line block ×3, first 2 shown]
	ds_read2_b64 v[0:3], v48 offset1:110
	v_add_nc_u32_e32 v28, 0x1000, v48
	v_add_nc_u32_e32 v51, 0x2000, v48
	;; [unrolled: 1-line block ×3, first 2 shown]
	ds_read2_b64 v[32:35], v28 offset0:88 offset1:198
	ds_read2_b64 v[28:31], v51 offset0:26 offset1:136
	v_add_nc_u32_e32 v52, 0x1400, v48
	ds_read2_b64 v[36:39], v36 offset0:132 offset1:242
	ds_read2_b64 v[40:43], v52 offset0:110 offset1:220
	v_mad_u32_u24 v85, 0x58, v44, 0
	s_waitcnt lgkmcnt(0)
	v_add_f32_e32 v54, v4, v24
	v_sub_f32_e32 v53, v24, v4
	v_sub_f32_e32 v61, v25, v5
	v_add_f32_e32 v60, v5, v25
	v_add_f32_e32 v56, v8, v20
	v_sub_f32_e32 v55, v20, v8
	v_add_f32_e32 v24, v0, v24
	v_sub_f32_e32 v68, v21, v9
	v_mul_f32_e32 v59, 0xbf0a6770, v61
	v_add_f32_e32 v25, v1, v25
	v_add_f32_e32 v67, v9, v21
	;; [unrolled: 1-line block ×4, first 2 shown]
	v_sub_f32_e32 v57, v16, v12
	v_mul_f32_e32 v66, 0xbf68dda4, v68
	v_fmamk_f32 v62, v54, 0x3f575c64, v59
	v_add_f32_e32 v21, v25, v21
	v_add_f32_e32 v16, v20, v16
	;; [unrolled: 1-line block ×3, first 2 shown]
	v_sub_f32_e32 v70, v17, v13
	v_mul_f32_e32 v64, 0x3f575c64, v60
	v_fmamk_f32 v72, v56, 0x3ed4b147, v66
	v_add_f32_e32 v73, v0, v62
	v_add_f32_e32 v17, v21, v17
	;; [unrolled: 1-line block ×3, first 2 shown]
	v_mul_f32_e32 v63, 0x3ed4b147, v67
	v_mul_f32_e32 v65, 0xbf7d64f0, v70
	v_fmamk_f32 v71, v53, 0x3f0a6770, v64
	v_add_f32_e32 v72, v72, v73
	v_sub_f32_e32 v73, v33, v29
	v_add_f32_e32 v17, v17, v33
	v_add_f32_e32 v16, v16, v40
	v_mul_f32_e32 v62, 0xbe11bafb, v69
	v_fmamk_f32 v74, v55, 0x3f68dda4, v63
	v_add_f32_e32 v71, v1, v71
	v_fmamk_f32 v75, v58, 0xbe11bafb, v65
	v_add_f32_e32 v76, v29, v33
	v_add_f32_e32 v20, v28, v32
	v_mul_f32_e32 v25, 0xbf4178ce, v73
	v_add_f32_e32 v17, v17, v41
	v_add_f32_e32 v16, v16, v36
	v_fmamk_f32 v24, v57, 0x3f7d64f0, v62
	v_add_f32_e32 v71, v74, v71
	v_sub_f32_e32 v74, v32, v28
	v_mul_f32_e32 v21, 0xbf27a4f4, v76
	v_add_f32_e32 v32, v75, v72
	v_sub_f32_e32 v72, v41, v37
	v_fmamk_f32 v33, v20, 0xbf27a4f4, v25
	v_add_f32_e32 v41, v37, v41
	v_add_f32_e32 v17, v17, v37
	;; [unrolled: 1-line block ×4, first 2 shown]
	v_fmamk_f32 v71, v74, 0x3f4178ce, v21
	v_add_f32_e32 v32, v33, v32
	v_sub_f32_e32 v33, v40, v36
	v_mul_f32_e32 v16, 0xbf75a155, v41
	v_add_f32_e32 v17, v17, v29
	v_add_f32_e32 v12, v28, v12
	;; [unrolled: 1-line block ×3, first 2 shown]
	v_mul_f32_e32 v84, 0xbe903f40, v72
	v_add_f32_e32 v24, v71, v24
	v_fmamk_f32 v29, v33, 0x3e903f40, v16
	v_add_f32_e32 v17, v17, v13
	v_add_f32_e32 v8, v12, v8
	v_mul_f32_e32 v36, 0xbf68dda4, v61
	v_fmamk_f32 v28, v83, 0xbf75a155, v84
	v_add_f32_e32 v13, v29, v24
	v_add_f32_e32 v9, v17, v9
	;; [unrolled: 1-line block ×3, first 2 shown]
	v_fmamk_f32 v8, v54, 0x3ed4b147, v36
	v_mul_f32_e32 v17, 0xbf4178ce, v68
	v_mul_f32_e32 v24, 0x3ed4b147, v60
	v_add_f32_e32 v12, v28, v32
	v_add_f32_e32 v5, v9, v5
	;; [unrolled: 1-line block ×3, first 2 shown]
	v_fmamk_f32 v9, v56, 0xbf27a4f4, v17
	v_fmamk_f32 v28, v53, 0x3f68dda4, v24
	v_mul_f32_e32 v29, 0xbf27a4f4, v67
	v_mul_f32_e32 v32, 0x3e903f40, v70
	v_mul_f32_e32 v40, 0xbf75a155, v69
	v_add_f32_e32 v8, v9, v8
	v_add_f32_e32 v9, v1, v28
	v_fmamk_f32 v28, v55, 0x3f4178ce, v29
	v_fmamk_f32 v37, v58, 0xbf75a155, v32
	v_mul_f32_e32 v71, 0x3f7d64f0, v73
	v_mul_f32_e32 v79, 0x3f0a6770, v72
	s_barrier
	v_add_f32_e32 v9, v28, v9
	v_add_f32_e32 v8, v37, v8
	v_fmamk_f32 v28, v57, 0xbe903f40, v40
	v_mul_f32_e32 v37, 0xbe11bafb, v76
	v_fmamk_f32 v75, v20, 0xbe11bafb, v71
	buffer_gl0_inv
	ds_write2_b64 v85, v[4:5], v[12:13] offset1:1
	v_add_f32_e32 v9, v28, v9
	v_fmamk_f32 v28, v74, 0xbf7d64f0, v37
	v_add_f32_e32 v8, v75, v8
	v_fmamk_f32 v75, v83, 0x3f575c64, v79
	v_mul_f32_e32 v12, 0xbf7d64f0, v61
	v_mul_f32_e32 v13, 0xbe11bafb, v60
	v_add_f32_e32 v5, v28, v9
	v_mul_f32_e32 v28, 0x3f575c64, v41
	v_add_f32_e32 v4, v75, v8
	v_fmamk_f32 v8, v54, 0xbe11bafb, v12
	v_mul_f32_e32 v80, 0x3e903f40, v68
	v_fmamk_f32 v9, v53, 0x3f7d64f0, v13
	v_mul_f32_e32 v81, 0xbf75a155, v67
	v_fmamk_f32 v75, v33, 0xbf0a6770, v28
	v_add_f32_e32 v8, v0, v8
	v_fmamk_f32 v77, v56, 0xbf75a155, v80
	v_mul_f32_e32 v82, 0x3f68dda4, v70
	v_add_f32_e32 v9, v1, v9
	v_fmamk_f32 v78, v55, 0xbe903f40, v81
	v_mul_f32_e32 v86, 0x3ed4b147, v69
	v_add_f32_e32 v5, v75, v5
	v_add_f32_e32 v8, v77, v8
	v_fmamk_f32 v75, v58, 0x3ed4b147, v82
	v_mul_f32_e32 v87, 0xbf0a6770, v73
	v_add_f32_e32 v9, v78, v9
	v_fmamk_f32 v77, v57, 0xbf68dda4, v86
	v_mul_f32_e32 v88, 0x3f575c64, v76
	v_add_f32_e32 v8, v75, v8
	v_fmamk_f32 v75, v20, 0x3f575c64, v87
	v_mul_f32_e32 v89, 0xbf4178ce, v72
	v_add_f32_e32 v9, v77, v9
	v_fmamk_f32 v77, v74, 0x3f0a6770, v88
	v_mul_f32_e32 v90, 0xbf27a4f4, v41
	v_add_f32_e32 v8, v75, v8
	v_fmamk_f32 v75, v83, 0xbf27a4f4, v89
	v_mul_f32_e32 v78, 0xbf27a4f4, v60
	v_add_f32_e32 v9, v77, v9
	v_mul_f32_e32 v77, 0x3f7d64f0, v68
	v_mul_f32_e32 v91, 0xbe11bafb, v67
	v_add_f32_e32 v8, v75, v8
	v_fmamk_f32 v75, v33, 0x3f4178ce, v90
	v_mul_f32_e32 v92, 0xbf0a6770, v70
	v_mul_f32_e32 v93, 0x3f575c64, v69
	;; [unrolled: 1-line block ×4, first 2 shown]
	v_add_f32_e32 v9, v75, v9
	v_mul_f32_e32 v75, 0xbf4178ce, v61
	v_mul_f32_e32 v96, 0x3f68dda4, v72
	;; [unrolled: 1-line block ×4, first 2 shown]
	ds_write2_b64 v85, v[4:5], v[8:9] offset0:2 offset1:3
	v_fmamk_f32 v4, v54, 0xbf27a4f4, v75
	v_fmamk_f32 v5, v56, 0xbe11bafb, v77
	;; [unrolled: 1-line block ×3, first 2 shown]
	v_mul_f32_e32 v68, 0x3f0a6770, v68
	v_mul_f32_e32 v60, 0xbf75a155, v60
	v_add_f32_e32 v4, v0, v4
	v_mul_f32_e32 v67, 0x3f575c64, v67
	v_mul_f32_e32 v70, 0xbf4178ce, v70
	v_fmamk_f32 v9, v56, 0x3f575c64, v68
	v_mul_f32_e32 v69, 0xbf27a4f4, v69
	v_add_f32_e32 v4, v5, v4
	v_fmamk_f32 v5, v53, 0x3f4178ce, v78
	v_fmamk_f32 v98, v55, 0xbf0a6770, v67
	v_mul_f32_e32 v73, 0x3f68dda4, v73
	v_mul_f32_e32 v72, 0xbf7d64f0, v72
	;; [unrolled: 1-line block ×3, first 2 shown]
	v_add_f32_e32 v5, v1, v5
	v_fmac_f32_e32 v78, 0xbf4178ce, v53
	v_fmac_f32_e32 v91, 0x3f7d64f0, v55
	;; [unrolled: 1-line block ×3, first 2 shown]
	v_fma_f32 v36, 0x3ed4b147, v54, -v36
	v_add_f32_e32 v5, v8, v5
	v_fmamk_f32 v8, v58, 0x3f575c64, v92
	v_fmac_f32_e32 v24, 0xbf68dda4, v53
	v_fmac_f32_e32 v13, 0xbf7d64f0, v53
	;; [unrolled: 1-line block ×4, first 2 shown]
	v_add_f32_e32 v4, v8, v4
	v_fmamk_f32 v8, v57, 0x3f0a6770, v93
	v_fmac_f32_e32 v93, 0xbf0a6770, v57
	v_add_f32_e32 v24, v1, v24
	v_fmac_f32_e32 v37, 0x3f7d64f0, v74
	v_fmac_f32_e32 v81, 0x3e903f40, v55
	v_add_f32_e32 v5, v8, v5
	v_fmamk_f32 v8, v20, 0xbf75a155, v94
	v_fmac_f32_e32 v28, 0x3f0a6770, v33
	v_fmac_f32_e32 v86, 0x3f68dda4, v57
	;; [unrolled: 1-line block ×4, first 2 shown]
	v_add_f32_e32 v4, v8, v4
	v_fmamk_f32 v8, v74, 0x3e903f40, v95
	v_fmac_f32_e32 v95, 0xbe903f40, v74
	v_fmac_f32_e32 v63, 0xbf68dda4, v55
	v_sub_f32_e32 v55, v27, v7
	v_fmac_f32_e32 v90, 0xbf4178ce, v33
	v_add_f32_e32 v5, v8, v5
	v_fmamk_f32 v8, v83, 0x3ed4b147, v96
	v_fmac_f32_e32 v62, 0xbf7d64f0, v57
	v_fmac_f32_e32 v21, 0xbf4178ce, v74
	;; [unrolled: 1-line block ×3, first 2 shown]
	s_mov_b32 s4, exec_lo
	v_add_f32_e32 v4, v8, v4
	v_fmamk_f32 v8, v33, 0xbf68dda4, v97
	v_fmac_f32_e32 v97, 0x3f68dda4, v33
	v_add_f32_e32 v5, v8, v5
	v_fmamk_f32 v8, v54, 0xbf75a155, v61
	v_add_f32_e32 v8, v0, v8
	v_add_f32_e32 v8, v9, v8
	v_fmamk_f32 v9, v53, 0x3e903f40, v60
	v_fmac_f32_e32 v60, 0xbe903f40, v53
	v_add_f32_e32 v9, v1, v9
	v_add_f32_e32 v60, v1, v60
	;; [unrolled: 1-line block ×3, first 2 shown]
	v_fmamk_f32 v98, v58, 0xbf27a4f4, v70
	v_add_f32_e32 v60, v67, v60
	v_add_f32_e32 v8, v98, v8
	v_fmamk_f32 v98, v57, 0x3f4178ce, v69
	v_fmac_f32_e32 v69, 0xbf4178ce, v57
	v_mul_f32_e32 v57, 0xbf4178ce, v55
	v_add_f32_e32 v9, v98, v9
	v_fmamk_f32 v98, v20, 0x3ed4b147, v73
	v_add_f32_e32 v8, v98, v8
	v_mul_f32_e32 v98, 0x3ed4b147, v76
	v_fmamk_f32 v76, v74, 0xbf68dda4, v98
	v_fmac_f32_e32 v98, 0x3f68dda4, v74
	v_add_f32_e32 v74, v39, v43
	v_add_f32_e32 v9, v76, v9
	v_fmamk_f32 v76, v83, 0xbe11bafb, v72
	v_add_f32_e32 v8, v76, v8
	v_fmamk_f32 v76, v33, 0x3f7d64f0, v41
	v_fmac_f32_e32 v41, 0xbf7d64f0, v33
	v_add_f32_e32 v9, v76, v9
	ds_write2_b64 v85, v[4:5], v[8:9] offset0:4 offset1:5
	v_fma_f32 v4, 0xbf27a4f4, v54, -v75
	v_fma_f32 v5, 0xbe11bafb, v56, -v77
	;; [unrolled: 1-line block ×4, first 2 shown]
	v_add_f32_e32 v68, v11, v23
	v_add_f32_e32 v4, v0, v4
	;; [unrolled: 1-line block ×5, first 2 shown]
	v_fma_f32 v8, 0xbf75a155, v20, -v94
	v_add_f32_e32 v5, v91, v5
	v_add_f32_e32 v4, v8, v4
	v_fma_f32 v8, 0xbf75a155, v54, -v61
	v_add_f32_e32 v5, v93, v5
	v_fma_f32 v61, 0x3ed4b147, v83, -v96
	v_add_f32_e32 v8, v0, v8
	v_add_f32_e32 v5, v95, v5
	;; [unrolled: 1-line block ×4, first 2 shown]
	v_fma_f32 v9, 0xbf27a4f4, v58, -v70
	v_add_f32_e32 v76, v97, v5
	v_add_f32_e32 v4, v9, v8
	v_fma_f32 v8, 0x3ed4b147, v20, -v73
	v_add_f32_e32 v9, v69, v60
	v_sub_f32_e32 v69, v35, v31
	v_add_f32_e32 v73, v31, v35
	v_add_f32_e32 v4, v8, v4
	;; [unrolled: 1-line block ×4, first 2 shown]
	v_fma_f32 v9, 0xbf27a4f4, v56, -v17
	v_fma_f32 v17, 0xbe11bafb, v83, -v72
	v_add_f32_e32 v72, v15, v19
	v_add_f32_e32 v78, v41, v5
	;; [unrolled: 1-line block ×3, first 2 shown]
	v_fma_f32 v9, 0xbf75a155, v58, -v32
	v_add_f32_e32 v77, v17, v4
	v_add_f32_e32 v4, v29, v24
	;; [unrolled: 1-line block ×3, first 2 shown]
	v_fma_f32 v8, 0xbe11bafb, v20, -v71
	v_fma_f32 v9, 0xbe11bafb, v54, -v12
	v_add_f32_e32 v12, v1, v13
	v_fma_f32 v13, 0x3f575c64, v83, -v79
	v_add_f32_e32 v4, v40, v4
	v_add_f32_e32 v5, v8, v5
	;; [unrolled: 1-line block ×3, first 2 shown]
	v_fma_f32 v9, 0xbf75a155, v56, -v80
	v_add_f32_e32 v12, v81, v12
	v_add_f32_e32 v4, v37, v4
	;; [unrolled: 1-line block ×5, first 2 shown]
	v_fma_f32 v9, 0x3ed4b147, v58, -v82
	v_add_f32_e32 v80, v28, v4
	v_add_f32_e32 v4, v86, v12
	;; [unrolled: 1-line block ×5, first 2 shown]
	v_fma_f32 v8, 0x3f575c64, v20, -v87
	v_fma_f32 v9, 0x3f575c64, v54, -v59
	v_add_f32_e32 v4, v88, v4
	v_add_f32_e32 v1, v62, v1
	v_sub_f32_e32 v62, v19, v15
	v_add_f32_e32 v5, v8, v5
	v_fma_f32 v8, 0x3ed4b147, v56, -v66
	v_add_f32_e32 v0, v0, v9
	v_fma_f32 v9, 0xbf27a4f4, v83, -v89
	v_add_f32_e32 v82, v90, v4
	v_sub_f32_e32 v56, v23, v11
	v_add_f32_e32 v28, v21, v1
	v_add_f32_e32 v0, v8, v0
	v_fma_f32 v8, 0xbe11bafb, v58, -v65
	v_add_f32_e32 v81, v9, v5
	v_fma_f32 v5, 0xbf27a4f4, v20, -v25
	v_mul_f32_e32 v20, 0xbf7d64f0, v55
	v_fma_f32 v9, 0xbf75a155, v83, -v84
	v_add_f32_e32 v0, v8, v0
	v_add_f32_e32 v1, v10, v22
	v_mul_f32_e32 v21, 0x3e903f40, v56
	v_mul_f32_e32 v24, 0x3f68dda4, v62
	;; [unrolled: 1-line block ×3, first 2 shown]
	v_add_f32_e32 v8, v5, v0
	v_add_f32_e32 v0, v6, v26
	v_sub_f32_e32 v5, v26, v6
	v_fmamk_f32 v13, v1, 0xbf75a155, v21
	v_sub_f32_e32 v71, v43, v39
	v_add_f32_e32 v83, v9, v8
	v_fmamk_f32 v4, v0, 0xbe11bafb, v20
	v_mul_f32_e32 v37, 0xbf7d64f0, v5
	v_sub_f32_e32 v9, v18, v14
	v_mul_f32_e32 v53, 0xbf4178ce, v71
	v_add_f32_e32 v84, v16, v28
	v_add_f32_e32 v12, v2, v4
	v_sub_f32_e32 v4, v22, v10
	v_fma_f32 v8, 0xbe11bafb, v64, -v37
	v_mul_f32_e32 v36, 0x3f68dda4, v9
	v_sub_f32_e32 v16, v42, v38
	v_add_f32_e32 v17, v13, v12
	v_mul_f32_e32 v25, 0x3e903f40, v4
	v_add_f32_e32 v12, v3, v8
	v_add_f32_e32 v8, v14, v18
	v_fma_f32 v33, 0x3ed4b147, v72, -v36
	v_mul_f32_e32 v65, 0xbf4178ce, v5
	v_fma_f32 v13, 0xbf75a155, v68, -v25
	v_mul_f32_e32 v59, 0x3f7d64f0, v56
	v_fmamk_f32 v32, v8, 0x3ed4b147, v24
	v_mul_f32_e32 v66, 0x3f7d64f0, v4
	v_mul_f32_e32 v60, 0xbf0a6770, v62
	v_add_f32_e32 v29, v13, v12
	v_sub_f32_e32 v13, v34, v30
	v_add_f32_e32 v12, v30, v34
	v_add_f32_e32 v32, v32, v17
	;; [unrolled: 1-line block ×4, first 2 shown]
	v_mul_f32_e32 v41, 0xbf0a6770, v13
	v_fmamk_f32 v33, v12, 0x3f575c64, v40
	v_fmamk_f32 v61, v1, 0xbe11bafb, v59
	v_fma_f32 v67, 0xbe11bafb, v68, -v66
	v_mul_f32_e32 v63, 0xbf0a6770, v9
	v_fma_f32 v54, 0x3f575c64, v73, -v41
	v_add_f32_e32 v28, v33, v32
	v_fmamk_f32 v32, v17, 0xbf27a4f4, v53
	v_fma_f32 v33, 0xbf27a4f4, v64, -v65
	v_fma_f32 v70, 0x3f575c64, v72, -v63
	v_add_f32_e32 v29, v54, v29
	v_mul_f32_e32 v54, 0xbf4178ce, v16
	v_add_f32_e32 v28, v32, v28
	v_fmamk_f32 v32, v0, 0xbf27a4f4, v57
	v_add_f32_e32 v33, v3, v33
	ds_write2_b64 v85, v[77:78], v[75:76] offset0:6 offset1:7
	ds_write2_b64 v85, v[81:82], v[79:80] offset0:8 offset1:9
	ds_write_b64 v85, v[83:84] offset:80
	v_fma_f32 v58, 0xbf27a4f4, v74, -v54
	v_add_f32_e32 v32, v2, v32
	v_add_f32_e32 v33, v67, v33
	v_mul_f32_e32 v67, 0xbe903f40, v13
	v_add_f32_e32 v29, v58, v29
	v_fmamk_f32 v58, v8, 0x3f575c64, v60
	v_add_f32_e32 v32, v61, v32
	v_mul_f32_e32 v61, 0xbe903f40, v69
	v_add_f32_e32 v33, v70, v33
	v_fma_f32 v86, 0xbf75a155, v73, -v67
	v_add_f32_e32 v32, v58, v32
	v_fmamk_f32 v70, v12, 0xbf75a155, v61
	v_mul_f32_e32 v58, 0x3f68dda4, v71
	v_add_f32_e32 v33, v86, v33
	v_add_f32_e32 v32, v70, v32
	v_fmamk_f32 v86, v17, 0x3ed4b147, v58
	v_mul_f32_e32 v70, 0x3f68dda4, v16
	v_add_f32_e32 v32, v86, v32
	v_fma_f32 v86, 0x3ed4b147, v74, -v70
	v_add_f32_e32 v33, v86, v33
	v_cmpx_gt_u32_e32 40, v44
	s_cbranch_execz .LBB0_21
; %bb.20:
	v_mul_f32_e32 v85, 0xbf75a155, v64
	v_mul_f32_e32 v91, 0x3f575c64, v68
	v_add_f32_e32 v27, v3, v27
	v_add_f32_e32 v26, v2, v26
	v_mul_f32_e32 v94, 0xbf27a4f4, v72
	v_fmamk_f32 v90, v5, 0x3e903f40, v85
	v_fmamk_f32 v93, v4, 0xbf0a6770, v91
	v_add_f32_e32 v23, v27, v23
	v_add_f32_e32 v22, v26, v22
	v_mul_f32_e32 v97, 0x3f0a6770, v56
	v_add_f32_e32 v90, v3, v90
	v_fmamk_f32 v95, v9, 0x3f4178ce, v94
	v_add_f32_e32 v19, v23, v19
	v_add_f32_e32 v18, v22, v18
	v_mul_f32_e32 v96, 0x3ed4b147, v73
	v_add_f32_e32 v90, v93, v90
	v_mul_f32_e32 v93, 0xbe903f40, v55
	v_fmamk_f32 v98, v1, 0x3f575c64, v97
	v_add_f32_e32 v19, v19, v35
	v_mul_f32_e32 v35, 0x3ed4b147, v64
	v_add_f32_e32 v23, v95, v90
	v_fmamk_f32 v22, v0, 0xbf75a155, v93
	v_fmamk_f32 v90, v13, 0xbf68dda4, v96
	v_mul_f32_e32 v95, 0xbe11bafb, v74
	v_add_f32_e32 v18, v18, v34
	v_fmamk_f32 v99, v5, 0x3f68dda4, v35
	v_add_f32_e32 v22, v2, v22
	v_mul_f32_e32 v100, 0xbf27a4f4, v68
	v_add_f32_e32 v23, v90, v23
	v_fmamk_f32 v90, v16, 0x3f7d64f0, v95
	v_add_f32_e32 v43, v19, v43
	v_add_f32_e32 v22, v98, v22
	v_mul_f32_e32 v98, 0xbf4178ce, v62
	v_add_f32_e32 v18, v18, v42
	v_mul_f32_e32 v101, 0x3f68dda4, v69
	v_add_f32_e32 v99, v3, v99
	v_fmamk_f32 v102, v4, 0x3f4178ce, v100
	v_fmamk_f32 v42, v8, 0xbf27a4f4, v98
	v_mul_f32_e32 v103, 0xbf75a155, v72
	v_add_f32_e32 v19, v90, v23
	v_fmamk_f32 v23, v12, 0x3ed4b147, v101
	v_add_f32_e32 v39, v43, v39
	v_add_f32_e32 v22, v42, v22
	;; [unrolled: 1-line block ×3, first 2 shown]
	v_fmamk_f32 v90, v9, 0xbe903f40, v103
	v_add_f32_e32 v18, v18, v38
	v_mul_f32_e32 v38, 0xbe11bafb, v73
	v_mul_f32_e32 v43, 0xbf68dda4, v55
	v_add_f32_e32 v22, v23, v22
	v_mul_f32_e32 v99, 0xbf7d64f0, v71
	v_add_f32_e32 v23, v90, v42
	v_fmamk_f32 v42, v13, 0xbf7d64f0, v38
	v_fmamk_f32 v90, v0, 0x3ed4b147, v43
	v_mul_f32_e32 v102, 0xbf4178ce, v56
	v_add_f32_e32 v31, v39, v31
	v_mul_f32_e32 v39, 0x3f575c64, v74
	v_add_f32_e32 v30, v18, v30
	v_add_f32_e32 v18, v2, v90
	v_fmamk_f32 v90, v1, 0xbf27a4f4, v102
	v_mul_f32_e32 v104, 0x3e903f40, v62
	v_fmamk_f32 v105, v17, 0xbe11bafb, v99
	v_add_f32_e32 v23, v42, v23
	v_fmamk_f32 v42, v16, 0xbf0a6770, v39
	v_add_f32_e32 v90, v90, v18
	;; [unrolled: 2-line block ×3, first 2 shown]
	v_mul_f32_e32 v105, 0x3f7d64f0, v69
	v_add_f32_e32 v23, v42, v23
	v_mul_f32_e32 v42, 0x3f575c64, v64
	v_mul_f32_e32 v76, 0xbe11bafb, v64
	;; [unrolled: 1-line block ×5, first 2 shown]
	v_add_f32_e32 v22, v106, v90
	v_fmamk_f32 v64, v12, 0xbe11bafb, v105
	v_add_f32_e32 v30, v30, v14
	v_mul_f32_e32 v90, 0x3f0a6770, v71
	v_fmamk_f32 v14, v5, 0x3f0a6770, v42
	v_mul_f32_e32 v68, 0x3ed4b147, v68
	v_mul_f32_e32 v55, 0xbf0a6770, v55
	;; [unrolled: 1-line block ×4, first 2 shown]
	v_add_f32_e32 v31, v31, v15
	v_add_f32_e32 v15, v64, v22
	v_fmamk_f32 v22, v17, 0x3f575c64, v90
	v_add_f32_e32 v14, v3, v14
	v_fmamk_f32 v64, v4, 0x3f68dda4, v68
	v_mul_f32_e32 v72, 0xbe11bafb, v72
	v_fmamk_f32 v106, v0, 0x3f575c64, v55
	v_mul_f32_e32 v56, 0xbf68dda4, v56
	v_add_f32_e32 v22, v22, v15
	v_add_f32_e32 v14, v64, v14
	v_fmamk_f32 v15, v9, 0x3f7d64f0, v72
	v_add_f32_e32 v64, v2, v106
	v_fmamk_f32 v106, v1, 0x3ed4b147, v56
	v_mul_f32_e32 v62, 0xbf7d64f0, v62
	v_fmac_f32_e32 v85, 0xbe903f40, v5
	v_mul_f32_e32 v75, 0xbe11bafb, v0
	v_mul_f32_e32 v89, 0x3f575c64, v73
	;; [unrolled: 1-line block ×4, first 2 shown]
	v_add_f32_e32 v14, v15, v14
	v_add_f32_e32 v15, v106, v64
	v_fmamk_f32 v64, v8, 0xbe11bafb, v62
	v_mul_f32_e32 v69, 0xbf4178ce, v69
	v_add_f32_e32 v85, v3, v85
	v_fmac_f32_e32 v91, 0x3f0a6770, v4
	v_mul_f32_e32 v79, 0xbf75a155, v1
	v_sub_f32_e32 v20, v75, v20
	v_mul_f32_e32 v34, 0xbf27a4f4, v74
	v_mul_f32_e32 v108, 0x3ed4b147, v74
	v_fmamk_f32 v106, v13, 0x3f4178ce, v73
	v_mul_f32_e32 v74, 0xbf75a155, v74
	v_add_f32_e32 v15, v64, v15
	v_fmamk_f32 v64, v12, 0xbf27a4f4, v69
	v_mul_f32_e32 v71, 0xbe903f40, v71
	v_add_f32_e32 v85, v91, v85
	v_fmac_f32_e32 v94, 0xbf4178ce, v9
	v_add_f32_e32 v11, v31, v11
	v_mul_f32_e32 v83, 0x3ed4b147, v8
	v_add_f32_e32 v20, v2, v20
	v_sub_f32_e32 v21, v79, v21
	v_add_f32_e32 v14, v106, v14
	v_fmamk_f32 v106, v16, 0x3e903f40, v74
	v_add_f32_e32 v64, v64, v15
	v_fmamk_f32 v109, v17, 0xbf75a155, v71
	v_add_f32_e32 v10, v30, v10
	v_add_f32_e32 v30, v94, v85
	v_fmac_f32_e32 v96, 0x3f68dda4, v13
	v_add_f32_e32 v7, v11, v7
	v_fma_f32 v11, 0xbf75a155, v0, -v93
	v_mul_f32_e32 v88, 0x3f575c64, v12
	v_add_f32_e32 v20, v21, v20
	v_sub_f32_e32 v21, v83, v24
	v_mul_f32_e32 v77, 0xbf27a4f4, v0
	v_add_f32_e32 v15, v106, v14
	v_add_f32_e32 v14, v109, v64
	;; [unrolled: 1-line block ×5, first 2 shown]
	v_fmac_f32_e32 v95, 0xbf7d64f0, v16
	v_add_f32_e32 v31, v2, v11
	v_fma_f32 v64, 0x3f575c64, v1, -v97
	v_mul_f32_e32 v27, 0xbf27a4f4, v17
	v_add_f32_e32 v20, v21, v20
	v_sub_f32_e32 v21, v88, v40
	v_add_f32_e32 v10, v3, v10
	v_add_f32_e32 v65, v66, v82
	;; [unrolled: 1-line block ×3, first 2 shown]
	v_sub_f32_e32 v30, v77, v57
	v_add_f32_e32 v31, v64, v31
	v_fma_f32 v57, 0xbf27a4f4, v8, -v98
	v_add_f32_e32 v20, v21, v20
	v_sub_f32_e32 v27, v27, v53
	v_add_f32_e32 v10, v65, v10
	v_add_f32_e32 v63, v63, v87
	;; [unrolled: 1-line block ×3, first 2 shown]
	v_fma_f32 v57, 0x3ed4b147, v12, -v101
	v_add_f32_e32 v20, v27, v20
	v_fma_f32 v27, 0x3ed4b147, v0, -v43
	v_fma_f32 v0, 0x3f575c64, v0, -v55
	v_mul_f32_e32 v81, 0xbe11bafb, v1
	v_add_f32_e32 v10, v63, v10
	v_add_f32_e32 v26, v67, v26
	;; [unrolled: 1-line block ×3, first 2 shown]
	v_fma_f32 v57, 0xbe11bafb, v17, -v99
	v_add_f32_e32 v37, v37, v76
	v_fmac_f32_e32 v35, 0xbf68dda4, v5
	v_fmac_f32_e32 v42, 0xbf0a6770, v5
	v_add_f32_e32 v5, v2, v27
	v_fma_f32 v27, 0xbf27a4f4, v1, -v102
	v_add_f32_e32 v0, v2, v0
	v_fma_f32 v1, 0x3ed4b147, v1, -v56
	v_mul_f32_e32 v86, 0x3f575c64, v8
	v_add_f32_e32 v30, v2, v30
	v_sub_f32_e32 v59, v81, v59
	v_add_f32_e32 v26, v26, v10
	v_add_f32_e32 v10, v57, v31
	;; [unrolled: 1-line block ×5, first 2 shown]
	v_fmac_f32_e32 v100, 0xbf4178ce, v4
	v_add_f32_e32 v3, v3, v42
	v_fmac_f32_e32 v68, 0xbf68dda4, v4
	v_add_f32_e32 v2, v27, v5
	v_fma_f32 v4, 0xbf75a155, v8, -v104
	v_add_f32_e32 v0, v1, v0
	v_fma_f32 v1, 0xbe11bafb, v8, -v62
	v_mul_f32_e32 v92, 0xbf75a155, v12
	v_add_f32_e32 v30, v59, v30
	v_sub_f32_e32 v59, v86, v60
	v_add_f32_e32 v25, v25, v31
	v_add_f32_e32 v31, v36, v84
	v_add_f32_e32 v24, v100, v24
	v_fmac_f32_e32 v103, 0x3e903f40, v9
	v_mul_u32_u24_e32 v91, 0x58, v44
	v_add_f32_e32 v3, v68, v3
	v_fmac_f32_e32 v72, 0xbf7d64f0, v9
	v_add_f32_e32 v2, v4, v2
	v_fma_f32 v4, 0xbe11bafb, v12, -v105
	v_add_f32_e32 v0, v1, v0
	v_fma_f32 v1, 0xbf27a4f4, v12, -v69
	v_mul_f32_e32 v107, 0x3ed4b147, v17
	v_add_f32_e32 v30, v59, v30
	v_sub_f32_e32 v59, v92, v61
	v_add_f32_e32 v25, v31, v25
	v_add_f32_e32 v31, v41, v89
	;; [unrolled: 1-line block ×3, first 2 shown]
	v_fmac_f32_e32 v38, 0x3f7d64f0, v13
	v_add_f32_e32 v3, v72, v3
	v_fmac_f32_e32 v73, 0xbf4178ce, v13
	v_add_f32_e32 v2, v4, v2
	v_fma_f32 v4, 0x3f575c64, v17, -v90
	v_add_nc_u32_e32 v9, 0, v91
	v_add_f32_e32 v5, v1, v0
	v_fma_f32 v8, 0xbf75a155, v17, -v71
	v_add_f32_e32 v60, v70, v108
	v_add_f32_e32 v30, v59, v30
	v_sub_f32_e32 v37, v107, v58
	v_add_f32_e32 v31, v31, v25
	v_add_f32_e32 v34, v54, v34
	v_add_f32_e32 v24, v38, v24
	v_fmac_f32_e32 v39, 0x3f0a6770, v16
	v_add_f32_e32 v3, v73, v3
	v_fmac_f32_e32 v74, 0xbe903f40, v16
	v_add_f32_e32 v0, v4, v2
	v_add_nc_u32_e32 v4, 0x25d0, v9
	v_add_f32_e32 v2, v8, v5
	v_add_nc_u32_e32 v5, 0x25e0, v9
	v_add_nc_u32_e32 v8, 0x25f0, v9
	v_add_f32_e32 v26, v60, v26
	v_add_f32_e32 v25, v37, v30
	v_add_nc_u32_e32 v12, 0x2600, v9
	v_add_f32_e32 v21, v34, v31
	v_add_f32_e32 v1, v39, v24
	v_add_nc_u32_e32 v13, 0x2610, v9
	v_add_f32_e32 v3, v74, v3
	ds_write2_b64 v4, v[6:7], v[14:15] offset1:1
	ds_write2_b64 v5, v[22:23], v[28:29] offset1:1
	;; [unrolled: 1-line block ×5, first 2 shown]
	ds_write_b64 v9, v[2:3] offset:9760
.LBB0_21:
	s_or_b32 exec_lo, exec_lo, s4
	v_add_nc_u32_e32 v8, 0x1c00, v48
	s_waitcnt lgkmcnt(0)
	s_barrier
	buffer_gl0_inv
	ds_read2_b64 v[4:7], v48 offset1:110
	ds_read2_b64 v[0:3], v52 offset0:20 offset1:185
	ds_read2_b64 v[12:15], v8 offset0:39 offset1:149
	;; [unrolled: 1-line block ×6, first 2 shown]
	s_and_saveexec_b32 s1, s0
	s_cbranch_execz .LBB0_23
; %bb.22:
	ds_read_b64 v[28:29], v48 offset:6160
	ds_read_b64 v[32:33], v48 offset:12760
.LBB0_23:
	s_or_b32 exec_lo, exec_lo, s1
	v_and_b32_e32 v34, 0xff, v44
	v_add_nc_u32_e32 v31, 0x6e, v44
	v_add_nc_u32_e32 v36, 0x1b8, v44
	v_mov_b32_e32 v41, 0xba2f
	v_add_nc_u32_e32 v40, 0x294, v44
	v_mul_lo_u16 v34, 0x75, v34
	v_and_b32_e32 v35, 0xff, v31
	v_add_nc_u32_e32 v39, 0x226, v44
	v_mul_u32_u24_sdwa v38, v36, v41 dst_sel:DWORD dst_unused:UNUSED_PAD src0_sel:WORD_0 src1_sel:DWORD
	v_mul_u32_u24_sdwa v50, v40, v41 dst_sel:DWORD dst_unused:UNUSED_PAD src0_sel:WORD_0 src1_sel:DWORD
	v_lshrrev_b16 v42, 8, v34
	v_mul_lo_u16 v43, 0x75, v35
	v_mul_u32_u24_sdwa v45, v39, v41 dst_sel:DWORD dst_unused:UNUSED_PAD src0_sel:WORD_0 src1_sel:DWORD
	v_lshrrev_b32_e32 v61, 19, v38
	v_lshrrev_b32_e32 v62, 19, v50
	v_sub_nc_u16 v49, v44, v42
	v_lshrrev_b16 v51, 8, v43
	v_lshrrev_b32_e32 v45, 19, v45
	v_mov_b32_e32 v34, 3
	v_mul_lo_u16 v53, v62, 11
	v_lshrrev_b16 v43, 1, v49
	v_mul_lo_u16 v49, v61, 11
	v_sub_nc_u16 v50, v31, v51
	v_mul_lo_u16 v52, v45, 11
	v_add_nc_u32_e32 v30, 0xdc, v44
	v_and_b32_e32 v43, 0x7f, v43
	v_sub_nc_u16 v49, v36, v49
	v_lshrrev_b16 v50, 1, v50
	v_sub_nc_u16 v40, v40, v53
	v_add_nc_u32_e32 v37, 0x14a, v44
	v_add_nc_u16 v42, v43, v42
	v_lshlrev_b32_sdwa v63, v34, v49 dst_sel:DWORD dst_unused:UNUSED_PAD src0_sel:DWORD src1_sel:WORD_0
	v_and_b32_e32 v49, 0x7f, v50
	v_sub_nc_u16 v39, v39, v52
	v_lshlrev_b32_sdwa v66, v34, v40 dst_sel:DWORD dst_unused:UNUSED_PAD src0_sel:DWORD src1_sel:WORD_0
	v_lshrrev_b16 v65, 3, v42
	v_mul_u32_u24_sdwa v40, v30, v41 dst_sel:DWORD dst_unused:UNUSED_PAD src0_sel:WORD_0 src1_sel:DWORD
	v_add_nc_u16 v53, v49, v51
	v_lshlrev_b32_sdwa v64, v34, v39 dst_sel:DWORD dst_unused:UNUSED_PAD src0_sel:DWORD src1_sel:WORD_0
	v_mul_u32_u24_sdwa v39, v37, v41 dst_sel:DWORD dst_unused:UNUSED_PAD src0_sel:WORD_0 src1_sel:DWORD
	v_mul_lo_u16 v54, v65, 11
	v_lshrrev_b32_e32 v68, 19, v40
	v_lshrrev_b16 v67, 3, v53
	s_clause 0x2
	global_load_dwordx2 v[42:43], v63, s[8:9]
	global_load_dwordx2 v[49:50], v64, s[8:9]
	;; [unrolled: 1-line block ×3, first 2 shown]
	v_lshrrev_b32_e32 v69, 19, v39
	v_sub_nc_u16 v53, v44, v54
	v_mul_lo_u16 v54, v67, 11
	v_mul_lo_u16 v55, v68, 11
	v_mov_b32_e32 v74, 0xb0
	v_mul_lo_u16 v56, v69, 11
	v_lshlrev_b32_sdwa v70, v34, v53 dst_sel:DWORD dst_unused:UNUSED_PAD src0_sel:DWORD src1_sel:BYTE_0
	v_sub_nc_u16 v57, v31, v54
	v_sub_nc_u16 v55, v30, v55
	v_mul_u32_u24_e32 v45, 0xb0, v45
	v_sub_nc_u16 v56, v37, v56
	global_load_dwordx2 v[53:54], v70, s[8:9]
	v_lshlrev_b32_sdwa v71, v34, v57 dst_sel:DWORD dst_unused:UNUSED_PAD src0_sel:DWORD src1_sel:BYTE_0
	v_lshlrev_b32_sdwa v72, v34, v55 dst_sel:DWORD dst_unused:UNUSED_PAD src0_sel:DWORD src1_sel:WORD_0
	v_mul_u32_u24_sdwa v65, v65, v74 dst_sel:DWORD dst_unused:UNUSED_PAD src0_sel:WORD_0 src1_sel:DWORD
	v_lshlrev_b32_sdwa v73, v34, v56 dst_sel:DWORD dst_unused:UNUSED_PAD src0_sel:DWORD src1_sel:WORD_0
	s_clause 0x2
	global_load_dwordx2 v[55:56], v71, s[8:9]
	global_load_dwordx2 v[57:58], v72, s[8:9]
	;; [unrolled: 1-line block ×3, first 2 shown]
	v_add3_u32 v45, 0, v45, v64
	v_add3_u32 v64, 0, v65, v70
	v_mul_u32_u24_e32 v62, 0xb0, v62
	v_mul_u32_u24_e32 v61, 0xb0, v61
	;; [unrolled: 1-line block ×4, first 2 shown]
	s_waitcnt vmcnt(0) lgkmcnt(0)
	v_add3_u32 v62, 0, v62, v66
	v_add3_u32 v61, 0, v61, v63
	v_mul_u32_u24_sdwa v63, v67, v74 dst_sel:DWORD dst_unused:UNUSED_PAD src0_sel:WORD_0 src1_sel:DWORD
	v_add3_u32 v68, 0, v68, v72
	v_add3_u32 v69, 0, v69, v73
	s_barrier
	buffer_gl0_inv
	v_add3_u32 v63, 0, v63, v71
	v_mul_f32_e32 v65, v43, v19
	v_mul_f32_e32 v43, v43, v18
	;; [unrolled: 1-line block ×5, first 2 shown]
	v_fmac_f32_e32 v65, v42, v18
	v_fma_f32 v19, v42, v19, -v43
	v_mul_f32_e32 v52, v52, v26
	v_fmac_f32_e32 v66, v49, v24
	v_fma_f32 v25, v49, v25, -v50
	v_fmac_f32_e32 v67, v51, v26
	v_sub_f32_e32 v18, v20, v65
	v_fma_f32 v27, v51, v27, -v52
	v_sub_f32_e32 v19, v21, v19
	v_mul_f32_e32 v42, v54, v3
	v_mul_f32_e32 v43, v54, v2
	v_sub_f32_e32 v24, v22, v66
	v_sub_f32_e32 v25, v23, v25
	;; [unrolled: 1-line block ×3, first 2 shown]
	v_fmac_f32_e32 v42, v53, v2
	v_fma_f32 v3, v53, v3, -v43
	v_mul_f32_e32 v43, v56, v13
	v_mul_f32_e32 v2, v56, v12
	;; [unrolled: 1-line block ×6, first 2 shown]
	v_fmac_f32_e32 v43, v55, v12
	v_fma_f32 v13, v55, v13, -v2
	v_fmac_f32_e32 v49, v57, v14
	v_fma_f32 v15, v57, v15, -v50
	;; [unrolled: 2-line block ×3, first 2 shown]
	v_sub_f32_e32 v2, v4, v42
	v_sub_f32_e32 v3, v5, v3
	;; [unrolled: 1-line block ×9, first 2 shown]
	v_fma_f32 v4, v4, 2.0, -v2
	v_fma_f32 v5, v5, 2.0, -v3
	;; [unrolled: 1-line block ×14, first 2 shown]
	ds_write2_b64 v64, v[4:5], v[2:3] offset1:11
	ds_write2_b64 v63, v[6:7], v[12:13] offset1:11
	;; [unrolled: 1-line block ×7, first 2 shown]
	s_and_saveexec_b32 s1, s0
	s_cbranch_execz .LBB0_25
; %bb.24:
	v_add_nc_u32_e32 v0, 0x302, v44
	v_mul_u32_u24_sdwa v1, v0, v41 dst_sel:DWORD dst_unused:UNUSED_PAD src0_sel:WORD_0 src1_sel:DWORD
	v_lshrrev_b32_e32 v2, 19, v1
	v_mul_lo_u16 v1, v2, 11
	v_mul_lo_u16 v2, v2, 22
	v_sub_nc_u16 v0, v0, v1
	v_lshlrev_b32_sdwa v4, v34, v0 dst_sel:DWORD dst_unused:UNUSED_PAD src0_sel:DWORD src1_sel:WORD_0
	global_load_dwordx2 v[0:1], v4, s[8:9]
	s_waitcnt vmcnt(0)
	v_mul_f32_e32 v3, v32, v1
	v_mul_f32_e32 v5, v33, v1
	v_fma_f32 v1, v33, v0, -v3
	v_fmac_f32_e32 v5, v32, v0
	v_sub_f32_e32 v1, v29, v1
	v_sub_f32_e32 v0, v28, v5
	v_lshlrev_b32_sdwa v5, v34, v2 dst_sel:DWORD dst_unused:UNUSED_PAD src0_sel:DWORD src1_sel:WORD_0
	v_fma_f32 v3, v29, 2.0, -v1
	v_fma_f32 v2, v28, 2.0, -v0
	v_add3_u32 v4, 0, v4, v5
	ds_write2_b64 v4, v[2:3], v[0:1] offset1:11
.LBB0_25:
	s_or_b32 exec_lo, exec_lo, s1
	v_lshrrev_b32_e32 v0, 20, v40
	v_lshrrev_b32_e32 v3, 20, v39
	;; [unrolled: 1-line block ×3, first 2 shown]
	v_mov_b32_e32 v2, 4
	s_waitcnt lgkmcnt(0)
	v_mul_lo_u16 v1, v0, 22
	v_mul_lo_u16 v4, v3, 22
	s_barrier
	buffer_gl0_inv
	v_add_nc_u32_e32 v6, 0xc00, v48
	v_sub_nc_u16 v28, v30, v1
	v_mul_lo_u16 v1, v27, 22
	v_sub_nc_u16 v29, v37, v4
	v_add_nc_u32_e32 v5, 0x2000, v48
	v_add_nc_u32_e32 v10, 0x1400, v48
	v_lshlrev_b32_sdwa v4, v2, v28 dst_sel:DWORD dst_unused:UNUSED_PAD src0_sel:DWORD src1_sel:WORD_0
	v_sub_nc_u16 v32, v36, v1
	v_lshlrev_b32_sdwa v1, v2, v29 dst_sel:DWORD dst_unused:UNUSED_PAD src0_sel:DWORD src1_sel:WORD_0
	v_add_nc_u32_e32 v8, 0x400, v48
	v_add_nc_u32_e32 v9, 0x2800, v48
	global_load_dwordx4 v[11:14], v4, s[8:9] offset:88
	v_add_nc_u32_e32 v7, 0x1800, v48
	global_load_dwordx4 v[15:18], v1, s[8:9] offset:88
	v_lshrrev_b16 v1, 1, v44
	v_lshlrev_b32_sdwa v4, v2, v32 dst_sel:DWORD dst_unused:UNUSED_PAD src0_sel:DWORD src1_sel:WORD_0
	v_add_nc_u32_e32 v76, 0xffffffbe, v44
	v_cmp_gt_u32_e64 s0, 0x42, v44
	v_mov_b32_e32 v78, 0xf83f
	v_and_b32_e32 v1, 0x7f, v1
	global_load_dwordx4 v[19:22], v4, s[8:9] offset:88
	v_lshrrev_b16 v4, 1, v35
	v_mul_lo_u16 v35, 0xf9, v35
	v_cndmask_b32_e64 v76, v76, v44, s0
	v_mul_lo_u16 v1, 0xbb, v1
	v_mov_b32_e32 v75, 0x210
	v_mul_lo_u16 v4, 0xbb, v4
	v_mul_u32_u24_e32 v79, 0x210, v0
	v_mul_u32_u24_sdwa v0, v30, v78 dst_sel:DWORD dst_unused:UNUSED_PAD src0_sel:WORD_0 src1_sel:DWORD
	v_lshrrev_b16 v33, 11, v1
	v_mul_u32_u24_e32 v78, 0x210, v27
	v_lshrrev_b16 v45, 11, v4
	v_lshlrev_b32_sdwa v32, v34, v32 dst_sel:DWORD dst_unused:UNUSED_PAD src0_sel:DWORD src1_sel:WORD_0
	v_lshrrev_b16 v80, 14, v35
	v_mul_lo_u16 v1, v33, 22
	v_mul_u32_u24_e32 v35, 0x210, v3
	v_mul_lo_u16 v4, v45, 22
	v_lshlrev_b32_e32 v3, 2, v76
	v_lshlrev_b32_sdwa v29, v34, v29 dst_sel:DWORD dst_unused:UNUSED_PAD src0_sel:DWORD src1_sel:WORD_0
	v_sub_nc_u16 v73, v44, v1
	v_mul_u32_u24_sdwa v45, v45, v75 dst_sel:DWORD dst_unused:UNUSED_PAD src0_sel:WORD_0 src1_sel:DWORD
	v_sub_nc_u16 v74, v31, v4
	v_mov_b32_e32 v4, 0
	v_lshlrev_b32_sdwa v82, v34, v28 dst_sel:DWORD dst_unused:UNUSED_PAD src0_sel:DWORD src1_sel:WORD_0
	v_lshlrev_b32_sdwa v1, v2, v73 dst_sel:DWORD dst_unused:UNUSED_PAD src0_sel:DWORD src1_sel:BYTE_0
	v_add3_u32 v78, 0, v78, v32
	v_lshlrev_b32_sdwa v2, v2, v74 dst_sel:DWORD dst_unused:UNUSED_PAD src0_sel:DWORD src1_sel:BYTE_0
	s_clause 0x1
	global_load_dwordx4 v[23:26], v1, s[8:9] offset:88
	global_load_dwordx4 v[36:39], v2, s[8:9] offset:88
	ds_read2_b64 v[40:43], v48 offset1:110
	ds_read_b64 v[1:2], v48 offset:12320
	ds_read2_b64 v[49:52], v6 offset0:56 offset1:166
	ds_read2_b64 v[53:56], v5 offset0:76 offset1:186
	ds_read2_b64 v[57:60], v10 offset0:20 offset1:130
	ds_read2_b64 v[61:64], v8 offset0:92 offset1:202
	ds_read2_b64 v[65:68], v9 offset0:40 offset1:150
	ds_read2_b64 v[69:72], v7 offset0:112 offset1:222
	v_lshlrev_b32_sdwa v32, v34, v74 dst_sel:DWORD dst_unused:UNUSED_PAD src0_sel:DWORD src1_sel:BYTE_0
	v_lshlrev_b64 v[27:28], 3, v[3:4]
	v_mul_u32_u24_sdwa v3, v33, v75 dst_sel:DWORD dst_unused:UNUSED_PAD src0_sel:WORD_0 src1_sel:DWORD
	v_add3_u32 v29, 0, v35, v29
	v_lshlrev_b32_sdwa v33, v34, v73 dst_sel:DWORD dst_unused:UNUSED_PAD src0_sel:DWORD src1_sel:BYTE_0
	v_add3_u32 v75, 0, v79, v82
	v_add3_u32 v45, 0, v45, v32
	v_mul_lo_u16 v81, 0x42, v80
	v_mov_b32_e32 v77, 5
	v_add3_u32 v3, 0, v3, v33
	v_lshrrev_b32_e32 v0, 22, v0
	v_add_co_u32 v27, s0, s8, v27
	v_sub_nc_u16 v81, v31, v81
	v_add_co_ci_u32_e64 v28, s0, s9, v28, s0
	s_waitcnt vmcnt(0) lgkmcnt(0)
	s_barrier
	buffer_gl0_inv
	v_cmp_lt_u32_e64 s0, 0x41, v44
	v_mul_f32_e32 v32, v60, v12
	v_mul_f32_e32 v12, v59, v12
	;; [unrolled: 1-line block ×8, first 2 shown]
	v_fmac_f32_e32 v35, v69, v15
	v_mul_f32_e32 v74, v72, v20
	v_mul_f32_e32 v79, v2, v22
	;; [unrolled: 1-line block ×4, first 2 shown]
	v_fmac_f32_e32 v73, v67, v17
	v_fmac_f32_e32 v32, v59, v11
	;; [unrolled: 1-line block ×4, first 2 shown]
	v_fma_f32 v11, v60, v11, -v12
	v_fmac_f32_e32 v33, v65, v13
	v_fma_f32 v12, v66, v13, -v14
	v_fma_f32 v13, v70, v15, -v16
	;; [unrolled: 1-line block ×5, first 2 shown]
	v_add_f32_e32 v22, v35, v73
	v_add_f32_e32 v1, v61, v32
	;; [unrolled: 1-line block ×4, first 2 shown]
	v_sub_f32_e32 v70, v74, v79
	v_add_f32_e32 v2, v32, v33
	v_add_f32_e32 v17, v62, v11
	;; [unrolled: 1-line block ×3, first 2 shown]
	v_sub_f32_e32 v20, v32, v33
	v_add_f32_e32 v21, v63, v35
	v_sub_f32_e32 v32, v13, v14
	v_add_f32_e32 v60, v13, v14
	v_fma_f32 v63, -0.5, v22, v63
	v_add_f32_e32 v1, v1, v33
	v_mul_f32_e32 v71, v24, v52
	v_mul_f32_e32 v24, v24, v51
	;; [unrolled: 1-line block ×8, first 2 shown]
	v_fmac_f32_e32 v71, v23, v51
	v_fma_f32 v23, v23, v52, -v24
	v_fmac_f32_e32 v72, v25, v53
	v_fma_f32 v24, v25, v54, -v26
	;; [unrolled: 2-line block ×4, first 2 shown]
	v_sub_f32_e32 v18, v11, v12
	v_add_f32_e32 v59, v64, v13
	v_sub_f32_e32 v35, v35, v73
	v_fma_f32 v11, -0.5, v2, v61
	v_add_f32_e32 v2, v17, v12
	v_fma_f32 v12, -0.5, v19, v62
	v_fmac_f32_e32 v64, -0.5, v60
	v_fmamk_f32 v19, v32, 0xbf5db3d7, v63
	v_fmac_f32_e32 v63, 0x3f5db3d7, v32
	v_add_f32_e32 v26, v40, v71
	v_add_f32_e32 v32, v71, v72
	;; [unrolled: 1-line block ×6, first 2 shown]
	v_fmamk_f32 v17, v18, 0xbf5db3d7, v11
	v_fmac_f32_e32 v11, 0x3f5db3d7, v18
	v_fmamk_f32 v18, v20, 0x3f5db3d7, v12
	v_fmac_f32_e32 v12, 0xbf5db3d7, v20
	;; [unrolled: 2-line block ×3, first 2 shown]
	v_sub_f32_e32 v36, v23, v24
	v_add_f32_e32 v35, v41, v23
	v_sub_f32_e32 v38, v71, v72
	v_sub_f32_e32 v52, v25, v33
	v_add_f32_e32 v53, v43, v25
	v_add_f32_e32 v23, v26, v72
	v_fma_f32 v25, -0.5, v32, v40
	v_fma_f32 v26, -0.5, v37, v41
	v_add_f32_e32 v39, v42, v74
	v_sub_f32_e32 v55, v74, v82
	v_fma_f32 v42, -0.5, v51, v42
	v_fmac_f32_e32 v43, -0.5, v54
	v_sub_f32_e32 v67, v15, v16
	v_add_f32_e32 v68, v50, v15
	v_fma_f32 v49, -0.5, v66, v49
	v_fmac_f32_e32 v50, -0.5, v69
	v_add_f32_e32 v24, v35, v24
	v_fmamk_f32 v35, v36, 0xbf5db3d7, v25
	v_fmac_f32_e32 v25, 0x3f5db3d7, v36
	v_fmamk_f32 v36, v38, 0x3f5db3d7, v26
	v_fmac_f32_e32 v26, 0xbf5db3d7, v38
	v_add_f32_e32 v32, v39, v82
	v_add_f32_e32 v33, v53, v33
	v_fmamk_f32 v37, v52, 0xbf5db3d7, v42
	v_fmamk_f32 v38, v55, 0x3f5db3d7, v43
	v_fmac_f32_e32 v42, 0x3f5db3d7, v52
	v_fmac_f32_e32 v43, 0xbf5db3d7, v55
	v_add_f32_e32 v13, v21, v73
	v_add_f32_e32 v14, v59, v14
	;; [unrolled: 1-line block ×4, first 2 shown]
	v_fmamk_f32 v21, v67, 0xbf5db3d7, v49
	v_fmac_f32_e32 v49, 0x3f5db3d7, v67
	v_fmamk_f32 v22, v70, 0x3f5db3d7, v50
	v_fmac_f32_e32 v50, 0xbf5db3d7, v70
	ds_write2_b64 v3, v[23:24], v[35:36] offset1:22
	ds_write_b64 v3, v[25:26] offset:352
	ds_write2_b64 v45, v[32:33], v[37:38] offset1:22
	ds_write_b64 v45, v[42:43] offset:352
	;; [unrolled: 2-line block ×5, first 2 shown]
	v_mul_lo_u16 v1, 0x42, v0
	v_lshlrev_b32_sdwa v2, v77, v81 dst_sel:DWORD dst_unused:UNUSED_PAD src0_sel:DWORD src1_sel:BYTE_0
	s_waitcnt lgkmcnt(0)
	s_barrier
	buffer_gl0_inv
	s_clause 0x2
	global_load_dwordx4 v[15:18], v[27:28], off offset:440
	global_load_dwordx4 v[23:26], v2, s[8:9] offset:440
	global_load_dwordx4 v[19:22], v[27:28], off offset:456
	v_sub_nc_u16 v27, v30, v1
	v_lshlrev_b32_e32 v3, 2, v44
	v_cndmask_b32_e64 v28, 0, 0xa50, s0
	v_lshlrev_b32_e32 v29, 3, v76
	v_mul_u32_u24_e32 v0, 0xa50, v0
	v_lshlrev_b32_sdwa v1, v77, v27 dst_sel:DWORD dst_unused:UNUSED_PAD src0_sel:DWORD src1_sel:WORD_0
	s_clause 0x2
	global_load_dwordx4 v[35:38], v2, s[8:9] offset:456
	global_load_dwordx4 v[39:42], v1, s[8:9] offset:440
	;; [unrolled: 1-line block ×3, first 2 shown]
	v_mov_b32_e32 v1, 0xa50
	v_add3_u32 v43, 0, v28, v29
	v_lshlrev_b32_sdwa v29, v34, v27 dst_sel:DWORD dst_unused:UNUSED_PAD src0_sel:DWORD src1_sel:WORD_0
	v_add_nc_u32_e32 v12, 0x1000, v48
	v_lshlrev_b32_sdwa v33, v34, v81 dst_sel:DWORD dst_unused:UNUSED_PAD src0_sel:DWORD src1_sel:BYTE_0
	v_mul_u32_u24_sdwa v32, v80, v1 dst_sel:DWORD dst_unused:UNUSED_PAD src0_sel:WORD_0 src1_sel:DWORD
	v_lshlrev_b64 v[1:2], 3, v[3:4]
	v_lshlrev_b32_e32 v3, 2, v31
	v_add_nc_u32_e32 v13, 0x1c00, v48
	v_add_nc_u32_e32 v14, 0x2400, v48
	;; [unrolled: 1-line block ×3, first 2 shown]
	v_add3_u32 v81, 0, v0, v29
	v_add_co_u32 v1, s0, s8, v1
	v_add_co_ci_u32_e64 v2, s0, s9, v2, s0
	v_lshlrev_b64 v[27:28], 3, v[3:4]
	v_add_co_u32 v71, s0, 0x9f8, v1
	v_lshlrev_b32_e32 v3, 2, v30
	v_add_co_ci_u32_e64 v72, s0, 0, v2, s0
	v_add_co_u32 v73, s0, 0x800, v1
	v_add_co_ci_u32_e64 v74, s0, 0, v2, s0
	v_add_co_u32 v65, s0, s8, v27
	v_lshlrev_b64 v[69:70], 3, v[3:4]
	ds_read2_b64 v[0:3], v8 offset0:92 offset1:202
	v_add3_u32 v45, 0, v32, v33
	v_add_co_ci_u32_e64 v66, s0, s9, v28, s0
	ds_read2_b64 v[27:30], v12 offset0:38 offset1:148
	ds_read2_b64 v[31:34], v13 offset0:94 offset1:204
	;; [unrolled: 1-line block ×3, first 2 shown]
	ds_read2_b32 v[75:76], v6 offset0:112 offset1:113
	ds_read2_b64 v[57:60], v7 offset0:2 offset1:112
	ds_read2_b64 v[61:64], v11 offset0:22 offset1:132
	v_add_co_u32 v77, s0, 0x9f8, v65
	v_add_co_ci_u32_e64 v78, s0, 0, v66, s0
	v_add_co_u32 v79, s0, 0x800, v65
	v_add_co_ci_u32_e64 v80, s0, 0, v66, s0
	ds_read2_b64 v[65:68], v48 offset1:110
	s_waitcnt vmcnt(0) lgkmcnt(0)
	s_barrier
	buffer_gl0_inv
	v_mul_f32_e32 v82, v16, v3
	v_mul_f32_e32 v16, v16, v2
	;; [unrolled: 1-line block ×24, first 2 shown]
	v_fmac_f32_e32 v82, v15, v2
	v_fma_f32 v2, v15, v3, -v16
	v_fmac_f32_e32 v83, v17, v29
	v_fma_f32 v3, v17, v30, -v18
	;; [unrolled: 2-line block ×12, first 2 shown]
	v_add_f32_e32 v19, v83, v84
	v_sub_f32_e32 v21, v82, v83
	v_sub_f32_e32 v22, v85, v84
	v_add_f32_e32 v27, v66, v2
	v_add_f32_e32 v28, v3, v29
	;; [unrolled: 1-line block ×5, first 2 shown]
	v_sub_f32_e32 v24, v83, v82
	v_sub_f32_e32 v25, v84, v85
	v_add_f32_e32 v42, v67, v86
	v_add_f32_e32 v49, v87, v88
	;; [unrolled: 1-line block ×6, first 2 shown]
	v_sub_f32_e32 v34, v2, v55
	v_sub_f32_e32 v35, v3, v29
	;; [unrolled: 1-line block ×9, first 2 shown]
	v_add_f32_e32 v82, v0, v90
	v_add_f32_e32 v86, v91, v92
	;; [unrolled: 1-line block ×6, first 2 shown]
	v_fma_f32 v2, -0.5, v19, v65
	v_add_f32_e32 v109, v21, v22
	v_add_f32_e32 v22, v27, v3
	v_fma_f32 v3, -0.5, v28, v66
	v_sub_f32_e32 v39, v83, v84
	v_sub_f32_e32 v50, v15, v36
	;; [unrolled: 1-line block ×7, first 2 shown]
	v_fma_f32 v15, -0.5, v23, v65
	v_fma_f32 v16, -0.5, v33, v66
	v_sub_f32_e32 v51, v18, v26
	v_sub_f32_e32 v63, v36, v26
	v_add_f32_e32 v83, v17, v83
	v_add_f32_e32 v65, v24, v25
	;; [unrolled: 1-line block ×3, first 2 shown]
	v_fma_f32 v17, -0.5, v49, v67
	v_add_f32_e32 v28, v58, v18
	v_fma_f32 v18, -0.5, v59, v68
	v_sub_f32_e32 v61, v87, v88
	v_fma_f32 v67, -0.5, v54, v67
	v_fmac_f32_e32 v68, -0.5, v64
	v_sub_f32_e32 v95, v20, v30
	v_sub_f32_e32 v96, v90, v91
	;; [unrolled: 1-line block ×5, first 2 shown]
	v_add_f32_e32 v110, v31, v32
	v_add_f32_e32 v31, v82, v91
	v_fma_f32 v19, -0.5, v86, v0
	v_fma_f32 v0, -0.5, v98, v0
	v_add_f32_e32 v32, v101, v20
	v_fma_f32 v20, -0.5, v102, v1
	v_fmac_f32_e32 v1, -0.5, v106
	v_fmamk_f32 v21, v34, 0xbf737871, v2
	v_add_f32_e32 v58, v22, v29
	v_fmamk_f32 v22, v37, 0x3f737871, v3
	v_sub_f32_e32 v41, v29, v55
	v_fmamk_f32 v23, v35, 0x3f737871, v15
	v_fmac_f32_e32 v15, 0xbf737871, v35
	v_fmamk_f32 v24, v39, 0xbf737871, v16
	v_fmac_f32_e32 v16, 0x3f737871, v39
	v_fmac_f32_e32 v2, 0x3f737871, v34
	;; [unrolled: 1-line block ×3, first 2 shown]
	v_sub_f32_e32 v53, v89, v88
	v_sub_f32_e32 v76, v26, v36
	v_add_f32_e32 v49, v62, v63
	v_add_f32_e32 v59, v25, v88
	v_fmamk_f32 v25, v50, 0xbf737871, v17
	v_add_f32_e32 v62, v28, v26
	v_fmamk_f32 v26, v60, 0x3f737871, v18
	v_sub_f32_e32 v57, v88, v89
	v_fmamk_f32 v27, v51, 0x3f737871, v67
	v_fmac_f32_e32 v67, 0xbf737871, v51
	v_fmamk_f32 v28, v61, 0xbf737871, v68
	v_fmac_f32_e32 v68, 0x3f737871, v61
	v_sub_f32_e32 v97, v93, v92
	v_sub_f32_e32 v100, v92, v93
	;; [unrolled: 1-line block ×4, first 2 shown]
	v_add_f32_e32 v33, v83, v84
	v_fmac_f32_e32 v17, 0x3f737871, v50
	v_fmac_f32_e32 v18, 0xbf737871, v60
	v_add_f32_e32 v63, v31, v92
	v_fmamk_f32 v29, v94, 0xbf737871, v19
	v_fmac_f32_e32 v19, 0x3f737871, v94
	v_fmamk_f32 v31, v95, 0x3f737871, v0
	v_fmac_f32_e32 v0, 0xbf737871, v95
	v_add_f32_e32 v64, v32, v30
	v_fmamk_f32 v30, v90, 0x3f737871, v20
	v_fmac_f32_e32 v20, 0xbf737871, v90
	v_fmamk_f32 v32, v103, 0xbf737871, v1
	v_fmac_f32_e32 v1, 0x3f737871, v103
	v_fmac_f32_e32 v21, 0xbf167918, v35
	;; [unrolled: 1-line block ×3, first 2 shown]
	v_add_f32_e32 v40, v40, v41
	v_fmac_f32_e32 v23, 0xbf167918, v34
	v_fmac_f32_e32 v15, 0x3f167918, v34
	;; [unrolled: 1-line block ×6, first 2 shown]
	v_add_f32_e32 v41, v52, v53
	v_fmac_f32_e32 v25, 0xbf167918, v51
	v_fmac_f32_e32 v26, 0x3f167918, v61
	v_add_f32_e32 v42, v56, v57
	v_add_f32_e32 v52, v75, v76
	v_fmac_f32_e32 v27, 0xbf167918, v50
	v_fmac_f32_e32 v67, 0x3f167918, v50
	;; [unrolled: 1-line block ×4, first 2 shown]
	v_add_f32_e32 v53, v96, v97
	v_add_f32_e32 v54, v99, v100
	;; [unrolled: 1-line block ×6, first 2 shown]
	v_fmac_f32_e32 v17, 0x3f167918, v51
	v_fmac_f32_e32 v18, 0xbf167918, v61
	;; [unrolled: 1-line block ×18, first 2 shown]
	v_add_f32_e32 v35, v59, v89
	v_add_f32_e32 v36, v62, v36
	v_fmac_f32_e32 v25, 0x3e9e377a, v41
	v_fmac_f32_e32 v26, 0x3e9e377a, v49
	;; [unrolled: 1-line block ×6, first 2 shown]
	v_add_f32_e32 v37, v63, v93
	v_add_f32_e32 v38, v64, v38
	v_fmac_f32_e32 v17, 0x3e9e377a, v41
	v_fmac_f32_e32 v18, 0x3e9e377a, v49
	;; [unrolled: 1-line block ×10, first 2 shown]
	ds_write2_b64 v43, v[33:34], v[21:22] offset1:66
	ds_write2_b64 v43, v[23:24], v[15:16] offset0:132 offset1:198
	ds_write_b64 v43, v[2:3] offset:2112
	ds_write2_b64 v45, v[35:36], v[25:26] offset1:66
	ds_write2_b64 v45, v[27:28], v[67:68] offset0:132 offset1:198
	ds_write_b64 v45, v[17:18] offset:2112
	;; [unrolled: 3-line block ×3, first 2 shown]
	v_add_co_u32 v2, s0, s8, v69
	v_add_co_ci_u32_e64 v3, s0, s9, v70, s0
	s_waitcnt lgkmcnt(0)
	v_add_co_u32 v0, s0, 0x800, v2
	v_add_co_ci_u32_e64 v1, s0, 0, v3, s0
	v_add_co_u32 v2, s0, 0x9f8, v2
	v_add_co_ci_u32_e64 v3, s0, 0, v3, s0
	s_barrier
	buffer_gl0_inv
	s_clause 0x5
	global_load_dwordx4 v[15:18], v[73:74], off offset:504
	global_load_dwordx4 v[19:22], v[71:72], off offset:16
	;; [unrolled: 1-line block ×6, first 2 shown]
	ds_read2_b64 v[0:3], v8 offset0:92 offset1:202
	ds_read2_b64 v[39:42], v12 offset0:38 offset1:148
	;; [unrolled: 1-line block ×4, first 2 shown]
	ds_read2_b32 v[65:66], v6 offset0:112 offset1:113
	ds_read2_b64 v[57:60], v7 offset0:2 offset1:112
	ds_read2_b64 v[11:14], v11 offset0:22 offset1:132
	ds_read2_b64 v[61:64], v48 offset1:110
	s_waitcnt vmcnt(0) lgkmcnt(0)
	s_barrier
	buffer_gl0_inv
	v_mul_f32_e32 v43, v16, v3
	v_mul_f32_e32 v16, v16, v2
	v_mul_f32_e32 v45, v18, v42
	v_mul_f32_e32 v18, v18, v41
	v_mul_f32_e32 v67, v20, v50
	v_mul_f32_e32 v68, v22, v56
	v_mul_f32_e32 v22, v22, v55
	v_mul_f32_e32 v69, v66, v24
	v_mul_f32_e32 v24, v24, v65
	v_mul_f32_e32 v70, v58, v26
	v_mul_f32_e32 v26, v57, v26
	v_mul_f32_e32 v71, v52, v28
	v_mul_f32_e32 v28, v51, v28
	v_mul_f32_e32 v72, v12, v30
	v_mul_f32_e32 v30, v11, v30
	v_mul_f32_e32 v20, v20, v49
	v_mul_f32_e32 v73, v40, v32
	v_mul_f32_e32 v32, v39, v32
	v_mul_f32_e32 v74, v60, v34
	v_mul_f32_e32 v34, v59, v34
	v_mul_f32_e32 v75, v54, v36
	v_mul_f32_e32 v36, v53, v36
	v_mul_f32_e32 v76, v14, v38
	v_mul_f32_e32 v38, v13, v38
	v_fmac_f32_e32 v43, v15, v2
	v_fma_f32 v2, v15, v3, -v16
	v_fmac_f32_e32 v45, v17, v41
	v_fma_f32 v3, v17, v42, -v18
	v_fmac_f32_e32 v67, v19, v49
	v_fmac_f32_e32 v68, v21, v55
	v_fma_f32 v41, v21, v56, -v22
	v_fmac_f32_e32 v69, v23, v65
	v_fma_f32 v15, v66, v23, -v24
	;; [unrolled: 2-line block ×5, first 2 shown]
	v_fma_f32 v18, v19, v50, -v20
	v_fmac_f32_e32 v73, v39, v31
	v_fma_f32 v11, v40, v31, -v32
	v_fmac_f32_e32 v74, v59, v33
	;; [unrolled: 2-line block ×4, first 2 shown]
	v_fma_f32 v34, v14, v37, -v38
	v_add_f32_e32 v12, v61, v43
	v_add_f32_e32 v13, v45, v67
	v_sub_f32_e32 v14, v43, v45
	v_sub_f32_e32 v19, v68, v67
	v_add_f32_e32 v20, v43, v68
	v_add_f32_e32 v24, v62, v2
	;; [unrolled: 1-line block ×8, first 2 shown]
	v_sub_f32_e32 v21, v45, v43
	v_sub_f32_e32 v23, v67, v68
	v_add_f32_e32 v25, v3, v18
	v_add_f32_e32 v37, v63, v69
	v_sub_f32_e32 v32, v43, v68
	v_sub_f32_e32 v27, v2, v3
	;; [unrolled: 1-line block ×11, first 2 shown]
	v_add_f32_e32 v65, v0, v73
	v_add_f32_e32 v66, v74, v75
	;; [unrolled: 1-line block ×6, first 2 shown]
	v_sub_f32_e32 v30, v2, v41
	v_sub_f32_e32 v31, v3, v18
	;; [unrolled: 1-line block ×10, first 2 shown]
	v_add_f32_e32 v45, v12, v45
	v_fma_f32 v2, -0.5, v13, v61
	v_add_f32_e32 v91, v14, v19
	v_fma_f32 v11, -0.5, v20, v61
	;; [unrolled: 2-line block ×3, first 2 shown]
	v_fma_f32 v13, -0.5, v38, v63
	v_fma_f32 v63, -0.5, v50, v63
	v_add_f32_e32 v24, v53, v16
	v_fma_f32 v14, -0.5, v54, v64
	v_fmac_f32_e32 v64, -0.5, v59
	v_add_f32_e32 v61, v21, v23
	v_fma_f32 v3, -0.5, v25, v62
	v_add_f32_e32 v21, v37, v70
	v_sub_f32_e32 v58, v42, v22
	v_sub_f32_e32 v78, v73, v74
	;; [unrolled: 1-line block ×4, first 2 shown]
	v_add_f32_e32 v92, v27, v28
	v_add_f32_e32 v35, v35, v36
	;; [unrolled: 1-line block ×5, first 2 shown]
	v_fma_f32 v15, -0.5, v66, v0
	v_add_f32_e32 v28, v83, v17
	v_fma_f32 v16, -0.5, v84, v1
	v_sub_f32_e32 v77, v17, v26
	v_sub_f32_e32 v85, v74, v75
	v_fma_f32 v0, -0.5, v80, v0
	v_fmac_f32_e32 v1, -0.5, v88
	v_sub_f32_e32 v52, v71, v72
	v_add_f32_e32 v29, v45, v67
	v_fmamk_f32 v19, v31, 0x3f737871, v11
	v_add_f32_e32 v45, v20, v18
	v_fmamk_f32 v20, v33, 0xbf737871, v12
	v_fmamk_f32 v23, v40, 0x3f737871, v63
	v_add_f32_e32 v54, v24, v22
	v_fmamk_f32 v24, v56, 0xbf737871, v64
	v_fmamk_f32 v17, v30, 0xbf737871, v2
	v_fmac_f32_e32 v2, 0x3f737871, v30
	v_fmamk_f32 v18, v32, 0x3f737871, v3
	v_fmac_f32_e32 v3, 0xbf737871, v32
	v_add_f32_e32 v53, v21, v71
	v_fmamk_f32 v21, v39, 0xbf737871, v13
	v_fmac_f32_e32 v13, 0x3f737871, v39
	v_fmamk_f32 v22, v55, 0x3f737871, v14
	v_fmac_f32_e32 v14, 0xbf737871, v55
	v_sub_f32_e32 v79, v76, v75
	v_sub_f32_e32 v87, v34, v26
	;; [unrolled: 1-line block ×3, first 2 shown]
	v_add_f32_e32 v38, v57, v58
	v_add_f32_e32 v57, v25, v75
	v_fmamk_f32 v25, v69, 0xbf737871, v15
	v_add_f32_e32 v58, v28, v26
	v_fmamk_f32 v26, v73, 0x3f737871, v16
	v_sub_f32_e32 v82, v75, v76
	v_fmac_f32_e32 v11, 0xbf737871, v31
	v_fmac_f32_e32 v12, 0x3f737871, v33
	;; [unrolled: 1-line block ×5, first 2 shown]
	v_fmamk_f32 v27, v77, 0x3f737871, v0
	v_fmac_f32_e32 v0, 0xbf737871, v77
	v_fmac_f32_e32 v16, 0xbf737871, v73
	v_fmamk_f32 v28, v85, 0xbf737871, v1
	v_fmac_f32_e32 v1, 0x3f737871, v85
	v_add_f32_e32 v37, v51, v52
	v_fmac_f32_e32 v19, 0xbf167918, v30
	v_fmac_f32_e32 v20, 0x3f167918, v32
	v_fmac_f32_e32 v23, 0xbf167918, v39
	v_fmac_f32_e32 v24, 0x3f167918, v55
	v_fmac_f32_e32 v2, 0x3f167918, v31
	v_fmac_f32_e32 v3, 0xbf167918, v33
	v_fmac_f32_e32 v13, 0x3f167918, v40
	v_fmac_f32_e32 v14, 0xbf167918, v56
	v_fmac_f32_e32 v17, 0xbf167918, v31
	v_fmac_f32_e32 v18, 0x3f167918, v33
	v_add_f32_e32 v49, v78, v79
	v_add_f32_e32 v51, v86, v87
	v_fmac_f32_e32 v21, 0xbf167918, v40
	v_fmac_f32_e32 v22, 0x3f167918, v56
	;; [unrolled: 1-line block ×4, first 2 shown]
	v_add_f32_e32 v50, v81, v82
	v_add_f32_e32 v52, v89, v90
	;; [unrolled: 1-line block ×3, first 2 shown]
	v_fmac_f32_e32 v11, 0x3f167918, v30
	v_add_f32_e32 v30, v45, v41
	v_fmac_f32_e32 v12, 0xbf167918, v32
	v_add_f32_e32 v31, v53, v72
	;; [unrolled: 2-line block ×3, first 2 shown]
	v_fmac_f32_e32 v64, 0xbf167918, v55
	v_fmac_f32_e32 v15, 0x3f167918, v77
	;; [unrolled: 1-line block ×15, first 2 shown]
	v_add_f32_e32 v33, v57, v76
	v_add_f32_e32 v34, v58, v34
	v_fmac_f32_e32 v17, 0x3e9e377a, v91
	v_fmac_f32_e32 v18, 0x3e9e377a, v92
	;; [unrolled: 1-line block ×16, first 2 shown]
	ds_write2_b64 v48, v[29:30], v[31:32] offset1:110
	ds_write2_b64 v10, v[19:20], v[23:24] offset0:20 offset1:130
	ds_write2_b64 v9, v[2:3], v[13:14] offset0:40 offset1:150
	;; [unrolled: 1-line block ×6, first 2 shown]
	ds_write_b64 v48, v[15:16] offset:12320
	s_waitcnt lgkmcnt(0)
	s_barrier
	buffer_gl0_inv
	s_and_saveexec_b32 s0, vcc_lo
	s_cbranch_execz .LBB0_27
; %bb.26:
	v_lshl_add_u32 v2, v44, 3, 0
	v_mov_b32_e32 v45, v4
	v_add_nc_u32_e32 v3, 0x6e, v44
	v_add_co_u32 v21, vcc_lo, s2, v46
	ds_read2_b64 v[5:8], v2 offset1:110
	v_add_nc_u32_e32 v9, 0x400, v2
	v_lshlrev_b64 v[0:1], 3, v[44:45]
	v_lshlrev_b64 v[13:14], 3, v[3:4]
	v_add_nc_u32_e32 v3, 0xdc, v44
	v_add_co_ci_u32_e32 v22, vcc_lo, s3, v47, vcc_lo
	ds_read2_b64 v[9:12], v9 offset0:92 offset1:202
	v_add_co_u32 v0, vcc_lo, v21, v0
	v_lshlrev_b64 v[15:16], 3, v[3:4]
	v_add_nc_u32_e32 v3, 0x14a, v44
	v_add_co_ci_u32_e32 v1, vcc_lo, v22, v1, vcc_lo
	v_add_co_u32 v13, vcc_lo, v21, v13
	v_add_co_ci_u32_e32 v14, vcc_lo, v22, v14, vcc_lo
	v_lshlrev_b64 v[17:18], 3, v[3:4]
	v_add_nc_u32_e32 v3, 0x1b8, v44
	s_waitcnt lgkmcnt(1)
	global_store_dwordx2 v[0:1], v[5:6], off
	global_store_dwordx2 v[13:14], v[7:8], off
	v_add_co_u32 v0, vcc_lo, v21, v15
	v_add_co_ci_u32_e32 v1, vcc_lo, v22, v16, vcc_lo
	v_add_co_u32 v5, vcc_lo, v21, v17
	v_add_co_ci_u32_e32 v6, vcc_lo, v22, v18, vcc_lo
	v_add_nc_u32_e32 v7, 0xc00, v2
	s_waitcnt lgkmcnt(0)
	global_store_dwordx2 v[0:1], v[9:10], off
	v_add_nc_u32_e32 v9, 0x1400, v2
	v_lshlrev_b64 v[13:14], 3, v[3:4]
	v_add_nc_u32_e32 v3, 0x226, v44
	global_store_dwordx2 v[5:6], v[11:12], off
	ds_read2_b64 v[5:8], v7 offset0:56 offset1:166
	ds_read2_b64 v[9:12], v9 offset0:20 offset1:130
	v_add_nc_u32_e32 v19, 0x1800, v2
	v_lshlrev_b64 v[0:1], 3, v[3:4]
	v_add_nc_u32_e32 v3, 0x294, v44
	v_add_co_u32 v13, vcc_lo, v21, v13
	v_add_co_ci_u32_e32 v14, vcc_lo, v22, v14, vcc_lo
	v_lshlrev_b64 v[15:16], 3, v[3:4]
	v_add_co_u32 v0, vcc_lo, v21, v0
	v_add_co_ci_u32_e32 v1, vcc_lo, v22, v1, vcc_lo
	v_add_nc_u32_e32 v3, 0x302, v44
	v_add_co_u32 v15, vcc_lo, v21, v15
	v_add_co_ci_u32_e32 v16, vcc_lo, v22, v16, vcc_lo
	v_lshlrev_b64 v[17:18], 3, v[3:4]
	v_add_nc_u32_e32 v3, 0x370, v44
	s_waitcnt lgkmcnt(1)
	global_store_dwordx2 v[13:14], v[5:6], off
	global_store_dwordx2 v[0:1], v[7:8], off
	s_waitcnt lgkmcnt(0)
	global_store_dwordx2 v[15:16], v[9:10], off
	ds_read2_b64 v[5:8], v19 offset0:112 offset1:222
	v_lshlrev_b64 v[0:1], 3, v[3:4]
	v_add_nc_u32_e32 v3, 0x3de, v44
	v_add_co_u32 v9, vcc_lo, v21, v17
	v_add_co_ci_u32_e32 v10, vcc_lo, v22, v18, vcc_lo
	v_lshlrev_b64 v[13:14], 3, v[3:4]
	v_add_nc_u32_e32 v3, 0x44c, v44
	v_add_co_u32 v0, vcc_lo, v21, v0
	v_add_co_ci_u32_e32 v1, vcc_lo, v22, v1, vcc_lo
	v_add_co_u32 v13, vcc_lo, v21, v13
	v_lshlrev_b64 v[15:16], 3, v[3:4]
	v_add_nc_u32_e32 v3, 0x4ba, v44
	v_add_co_ci_u32_e32 v14, vcc_lo, v22, v14, vcc_lo
	v_add_nc_u32_e32 v17, 0x2000, v2
	global_store_dwordx2 v[9:10], v[11:12], off
	s_waitcnt lgkmcnt(0)
	global_store_dwordx2 v[0:1], v[5:6], off
	global_store_dwordx2 v[13:14], v[7:8], off
	v_lshlrev_b64 v[0:1], 3, v[3:4]
	v_add_nc_u32_e32 v3, 0x528, v44
	v_add_nc_u32_e32 v9, 0x2800, v2
	v_add_co_u32 v13, vcc_lo, v21, v15
	ds_read2_b64 v[5:8], v17 offset0:76 offset1:186
	v_add_co_ci_u32_e32 v14, vcc_lo, v22, v16, vcc_lo
	v_lshlrev_b64 v[15:16], 3, v[3:4]
	v_add_nc_u32_e32 v3, 0x596, v44
	ds_read2_b64 v[9:12], v9 offset0:40 offset1:150
	ds_read_b64 v[17:18], v2 offset:12320
	v_add_co_u32 v0, vcc_lo, v21, v0
	v_lshlrev_b64 v[19:20], 3, v[3:4]
	v_add_nc_u32_e32 v3, 0x604, v44
	v_add_co_ci_u32_e32 v1, vcc_lo, v22, v1, vcc_lo
	v_add_co_u32 v15, vcc_lo, v21, v15
	v_lshlrev_b64 v[2:3], 3, v[3:4]
	v_add_co_ci_u32_e32 v16, vcc_lo, v22, v16, vcc_lo
	v_add_co_u32 v19, vcc_lo, v21, v19
	v_add_co_ci_u32_e32 v20, vcc_lo, v22, v20, vcc_lo
	v_add_co_u32 v2, vcc_lo, v21, v2
	v_add_co_ci_u32_e32 v3, vcc_lo, v22, v3, vcc_lo
	s_waitcnt lgkmcnt(2)
	global_store_dwordx2 v[13:14], v[5:6], off
	global_store_dwordx2 v[0:1], v[7:8], off
	s_waitcnt lgkmcnt(1)
	global_store_dwordx2 v[15:16], v[9:10], off
	global_store_dwordx2 v[19:20], v[11:12], off
	s_waitcnt lgkmcnt(0)
	global_store_dwordx2 v[2:3], v[17:18], off
.LBB0_27:
	s_endpgm
	.section	.rodata,"a",@progbits
	.p2align	6, 0x0
	.amdhsa_kernel fft_rtc_back_len1650_factors_11_2_3_5_5_wgs_110_tpt_110_halfLds_sp_ip_CI_unitstride_sbrr_C2R_dirReg
		.amdhsa_group_segment_fixed_size 0
		.amdhsa_private_segment_fixed_size 0
		.amdhsa_kernarg_size 88
		.amdhsa_user_sgpr_count 6
		.amdhsa_user_sgpr_private_segment_buffer 1
		.amdhsa_user_sgpr_dispatch_ptr 0
		.amdhsa_user_sgpr_queue_ptr 0
		.amdhsa_user_sgpr_kernarg_segment_ptr 1
		.amdhsa_user_sgpr_dispatch_id 0
		.amdhsa_user_sgpr_flat_scratch_init 0
		.amdhsa_user_sgpr_private_segment_size 0
		.amdhsa_wavefront_size32 1
		.amdhsa_uses_dynamic_stack 0
		.amdhsa_system_sgpr_private_segment_wavefront_offset 0
		.amdhsa_system_sgpr_workgroup_id_x 1
		.amdhsa_system_sgpr_workgroup_id_y 0
		.amdhsa_system_sgpr_workgroup_id_z 0
		.amdhsa_system_sgpr_workgroup_info 0
		.amdhsa_system_vgpr_workitem_id 0
		.amdhsa_next_free_vgpr 111
		.amdhsa_next_free_sgpr 21
		.amdhsa_reserve_vcc 1
		.amdhsa_reserve_flat_scratch 0
		.amdhsa_float_round_mode_32 0
		.amdhsa_float_round_mode_16_64 0
		.amdhsa_float_denorm_mode_32 3
		.amdhsa_float_denorm_mode_16_64 3
		.amdhsa_dx10_clamp 1
		.amdhsa_ieee_mode 1
		.amdhsa_fp16_overflow 0
		.amdhsa_workgroup_processor_mode 1
		.amdhsa_memory_ordered 1
		.amdhsa_forward_progress 0
		.amdhsa_shared_vgpr_count 0
		.amdhsa_exception_fp_ieee_invalid_op 0
		.amdhsa_exception_fp_denorm_src 0
		.amdhsa_exception_fp_ieee_div_zero 0
		.amdhsa_exception_fp_ieee_overflow 0
		.amdhsa_exception_fp_ieee_underflow 0
		.amdhsa_exception_fp_ieee_inexact 0
		.amdhsa_exception_int_div_zero 0
	.end_amdhsa_kernel
	.text
.Lfunc_end0:
	.size	fft_rtc_back_len1650_factors_11_2_3_5_5_wgs_110_tpt_110_halfLds_sp_ip_CI_unitstride_sbrr_C2R_dirReg, .Lfunc_end0-fft_rtc_back_len1650_factors_11_2_3_5_5_wgs_110_tpt_110_halfLds_sp_ip_CI_unitstride_sbrr_C2R_dirReg
                                        ; -- End function
	.section	.AMDGPU.csdata,"",@progbits
; Kernel info:
; codeLenInByte = 13624
; NumSgprs: 23
; NumVgprs: 111
; ScratchSize: 0
; MemoryBound: 0
; FloatMode: 240
; IeeeMode: 1
; LDSByteSize: 0 bytes/workgroup (compile time only)
; SGPRBlocks: 2
; VGPRBlocks: 13
; NumSGPRsForWavesPerEU: 23
; NumVGPRsForWavesPerEU: 111
; Occupancy: 9
; WaveLimiterHint : 1
; COMPUTE_PGM_RSRC2:SCRATCH_EN: 0
; COMPUTE_PGM_RSRC2:USER_SGPR: 6
; COMPUTE_PGM_RSRC2:TRAP_HANDLER: 0
; COMPUTE_PGM_RSRC2:TGID_X_EN: 1
; COMPUTE_PGM_RSRC2:TGID_Y_EN: 0
; COMPUTE_PGM_RSRC2:TGID_Z_EN: 0
; COMPUTE_PGM_RSRC2:TIDIG_COMP_CNT: 0
	.text
	.p2alignl 6, 3214868480
	.fill 48, 4, 3214868480
	.type	__hip_cuid_e4267d82c4d74bee,@object ; @__hip_cuid_e4267d82c4d74bee
	.section	.bss,"aw",@nobits
	.globl	__hip_cuid_e4267d82c4d74bee
__hip_cuid_e4267d82c4d74bee:
	.byte	0                               ; 0x0
	.size	__hip_cuid_e4267d82c4d74bee, 1

	.ident	"AMD clang version 19.0.0git (https://github.com/RadeonOpenCompute/llvm-project roc-6.4.0 25133 c7fe45cf4b819c5991fe208aaa96edf142730f1d)"
	.section	".note.GNU-stack","",@progbits
	.addrsig
	.addrsig_sym __hip_cuid_e4267d82c4d74bee
	.amdgpu_metadata
---
amdhsa.kernels:
  - .args:
      - .actual_access:  read_only
        .address_space:  global
        .offset:         0
        .size:           8
        .value_kind:     global_buffer
      - .offset:         8
        .size:           8
        .value_kind:     by_value
      - .actual_access:  read_only
        .address_space:  global
        .offset:         16
        .size:           8
        .value_kind:     global_buffer
      - .actual_access:  read_only
        .address_space:  global
        .offset:         24
        .size:           8
        .value_kind:     global_buffer
      - .offset:         32
        .size:           8
        .value_kind:     by_value
      - .actual_access:  read_only
        .address_space:  global
        .offset:         40
        .size:           8
        .value_kind:     global_buffer
      - .actual_access:  read_only
        .address_space:  global
        .offset:         48
        .size:           8
        .value_kind:     global_buffer
      - .offset:         56
        .size:           4
        .value_kind:     by_value
      - .actual_access:  read_only
        .address_space:  global
        .offset:         64
        .size:           8
        .value_kind:     global_buffer
      - .actual_access:  read_only
        .address_space:  global
        .offset:         72
        .size:           8
        .value_kind:     global_buffer
      - .address_space:  global
        .offset:         80
        .size:           8
        .value_kind:     global_buffer
    .group_segment_fixed_size: 0
    .kernarg_segment_align: 8
    .kernarg_segment_size: 88
    .language:       OpenCL C
    .language_version:
      - 2
      - 0
    .max_flat_workgroup_size: 110
    .name:           fft_rtc_back_len1650_factors_11_2_3_5_5_wgs_110_tpt_110_halfLds_sp_ip_CI_unitstride_sbrr_C2R_dirReg
    .private_segment_fixed_size: 0
    .sgpr_count:     23
    .sgpr_spill_count: 0
    .symbol:         fft_rtc_back_len1650_factors_11_2_3_5_5_wgs_110_tpt_110_halfLds_sp_ip_CI_unitstride_sbrr_C2R_dirReg.kd
    .uniform_work_group_size: 1
    .uses_dynamic_stack: false
    .vgpr_count:     111
    .vgpr_spill_count: 0
    .wavefront_size: 32
    .workgroup_processor_mode: 1
amdhsa.target:   amdgcn-amd-amdhsa--gfx1030
amdhsa.version:
  - 1
  - 2
...

	.end_amdgpu_metadata
